;; amdgpu-corpus repo=ROCm/rocFFT kind=compiled arch=gfx906 opt=O3
	.text
	.amdgcn_target "amdgcn-amd-amdhsa--gfx906"
	.amdhsa_code_object_version 6
	.protected	bluestein_single_fwd_len780_dim1_dp_op_CI_CI ; -- Begin function bluestein_single_fwd_len780_dim1_dp_op_CI_CI
	.globl	bluestein_single_fwd_len780_dim1_dp_op_CI_CI
	.p2align	8
	.type	bluestein_single_fwd_len780_dim1_dp_op_CI_CI,@function
bluestein_single_fwd_len780_dim1_dp_op_CI_CI: ; @bluestein_single_fwd_len780_dim1_dp_op_CI_CI
; %bb.0:
	v_mul_u32_u24_e32 v1, 0x349, v0
	s_mov_b64 s[54:55], s[2:3]
	s_load_dwordx4 s[16:19], s[4:5], 0x28
	v_lshrrev_b32_e32 v1, 16, v1
	s_mov_b64 s[52:53], s[0:1]
	v_mad_u64_u32 v[184:185], s[0:1], s6, 3, v[1:2]
	v_mov_b32_e32 v185, 0
	s_add_u32 s52, s52, s7
	s_waitcnt lgkmcnt(0)
	v_cmp_gt_u64_e32 vcc, s[16:17], v[184:185]
	s_addc_u32 s53, s53, 0
	s_and_saveexec_b64 s[0:1], vcc
	s_cbranch_execz .LBB0_18
; %bb.1:
	s_load_dwordx4 s[0:3], s[4:5], 0x18
	s_load_dwordx4 s[8:11], s[4:5], 0x0
	v_mul_lo_u16_e32 v1, 0x4e, v1
	v_sub_u16_e32 v255, v0, v1
	v_lshlrev_b32_e32 v25, 4, v255
	s_waitcnt lgkmcnt(0)
	s_load_dwordx4 s[12:15], s[0:1], 0x0
	s_movk_i32 s6, 0x1000
	s_waitcnt lgkmcnt(0)
	v_mad_u64_u32 v[0:1], s[0:1], s14, v184, 0
	v_mad_u64_u32 v[2:3], s[0:1], s12, v255, 0
	s_mul_hi_u32 s7, s12, 0xffffec80
	s_sub_i32 s7, s7, s12
	v_mad_u64_u32 v[4:5], s[0:1], s15, v184, v[1:2]
	v_mad_u64_u32 v[5:6], s[0:1], s13, v255, v[3:4]
	v_mov_b32_e32 v1, v4
	v_lshlrev_b64 v[0:1], 4, v[0:1]
	v_mov_b32_e32 v6, s19
	v_mov_b32_e32 v3, v5
	v_add_co_u32_e32 v4, vcc, s18, v0
	v_addc_co_u32_e32 v5, vcc, v6, v1, vcc
	v_lshlrev_b64 v[0:1], 4, v[2:3]
	s_mul_i32 s0, s13, 0x1860
	v_add_co_u32_e32 v8, vcc, v4, v0
	v_addc_co_u32_e32 v9, vcc, v5, v1, vcc
	v_mov_b32_e32 v0, s9
	v_add_co_u32_e32 v18, vcc, s8, v25
	s_mul_hi_u32 s1, s12, 0x1860
	v_addc_co_u32_e32 v19, vcc, 0, v0, vcc
	s_add_i32 s0, s1, s0
	s_mul_i32 s1, s12, 0x1860
	v_mov_b32_e32 v0, s0
	v_add_co_u32_e32 v10, vcc, s1, v8
	v_addc_co_u32_e32 v11, vcc, v9, v0, vcc
	v_add_co_u32_e32 v12, vcc, s6, v18
	v_addc_co_u32_e32 v13, vcc, 0, v19, vcc
	global_load_dwordx4 v[0:3], v[8:9], off
	global_load_dwordx4 v[4:7], v[10:11], off
	global_load_dwordx4 v[21:24], v[12:13], off offset:2144
	global_load_dwordx4 v[88:91], v25, s[8:9]
	global_load_dwordx4 v[26:29], v25, s[8:9] offset:1248
	s_mul_i32 s6, s13, 0xffffec80
	s_add_i32 s6, s7, s6
	s_mul_i32 s7, s12, 0xffffec80
	v_mov_b32_e32 v8, s6
	v_add_co_u32_e32 v14, vcc, s7, v10
	v_addc_co_u32_e32 v15, vcc, v11, v8, vcc
	v_mov_b32_e32 v8, s0
	v_add_co_u32_e32 v16, vcc, s1, v14
	v_addc_co_u32_e32 v17, vcc, v15, v8, vcc
	global_load_dwordx4 v[8:11], v[14:15], off
	global_load_dwordx4 v[40:43], v[16:17], off
	global_load_dwordx4 v[30:33], v[12:13], off offset:3392
	v_mov_b32_e32 v15, s6
	v_add_co_u32_e32 v14, vcc, s7, v16
	v_addc_co_u32_e32 v15, vcc, v17, v15, vcc
	global_load_dwordx4 v[44:47], v[14:15], off
	v_mov_b32_e32 v16, s0
	v_add_co_u32_e32 v14, vcc, s1, v14
	v_addc_co_u32_e32 v15, vcc, v15, v16, vcc
	s_movk_i32 s12, 0x2000
	v_add_co_u32_e32 v16, vcc, s12, v18
	v_addc_co_u32_e32 v17, vcc, 0, v19, vcc
	global_load_dwordx4 v[48:51], v[14:15], off
	v_mov_b32_e32 v18, s6
	v_add_co_u32_e32 v14, vcc, s7, v14
	v_addc_co_u32_e32 v15, vcc, v15, v18, vcc
	global_load_dwordx4 v[34:37], v[16:17], off offset:544
	global_load_dwordx4 v[52:55], v[14:15], off
	global_load_dwordx4 v[68:71], v25, s[8:9] offset:2496
	global_load_dwordx4 v[76:79], v25, s[8:9] offset:3744
	v_mov_b32_e32 v18, s0
	v_add_co_u32_e32 v14, vcc, s1, v14
	v_addc_co_u32_e32 v15, vcc, v15, v18, vcc
	global_load_dwordx4 v[56:59], v[14:15], off
	global_load_dwordx4 v[72:75], v[16:17], off offset:1792
	v_mov_b32_e32 v18, s6
	v_add_co_u32_e32 v14, vcc, s7, v14
	v_addc_co_u32_e32 v15, vcc, v15, v18, vcc
	global_load_dwordx4 v[60:63], v[14:15], off
	global_load_dwordx4 v[80:83], v[12:13], off offset:896
	;; [unrolled: 5-line block ×3, first 2 shown]
	s_load_dwordx2 s[12:13], s[4:5], 0x38
	s_mov_b32 s1, 0xaaaaaaab
	s_load_dwordx4 s[4:7], s[2:3], 0x0
	v_mul_hi_u32 v20, v184, s1
	s_movk_i32 s0, 0x4e
	v_lshrrev_b32_e32 v20, 1, v20
	v_lshl_add_u32 v20, v20, 1, v20
	v_sub_u32_e32 v20, v184, v20
	v_mul_u32_u24_e32 v187, 0x30c, v20
	s_waitcnt vmcnt(16)
	v_mul_f64 v[12:13], v[2:3], v[90:91]
	v_mul_f64 v[16:17], v[6:7], v[23:24]
	;; [unrolled: 1-line block ×4, first 2 shown]
	v_fma_f64 v[0:1], v[0:1], v[88:89], v[12:13]
	buffer_store_dword v88, off, s[52:55], 0 offset:144 ; 4-byte Folded Spill
	s_nop 0
	buffer_store_dword v89, off, s[52:55], 0 offset:148 ; 4-byte Folded Spill
	buffer_store_dword v90, off, s[52:55], 0 offset:152 ; 4-byte Folded Spill
	;; [unrolled: 1-line block ×3, first 2 shown]
	v_fma_f64 v[4:5], v[4:5], v[21:22], v[16:17]
	buffer_store_dword v21, off, s[52:55], 0 ; 4-byte Folded Spill
	s_nop 0
	buffer_store_dword v22, off, s[52:55], 0 offset:4 ; 4-byte Folded Spill
	buffer_store_dword v23, off, s[52:55], 0 offset:8 ; 4-byte Folded Spill
	buffer_store_dword v24, off, s[52:55], 0 offset:12 ; 4-byte Folded Spill
	v_lshlrev_b32_e32 v23, 4, v187
	v_add_u32_e32 v12, v25, v23
	v_fma_f64 v[2:3], v[2:3], v[88:89], -v[14:15]
	s_waitcnt vmcnt(22)
	v_mul_f64 v[13:14], v[10:11], v[28:29]
	v_fma_f64 v[6:7], v[6:7], v[21:22], -v[18:19]
	s_waitcnt vmcnt(20)
	v_mul_f64 v[17:18], v[42:43], v[32:33]
	v_mul_f64 v[15:16], v[8:9], v[28:29]
	ds_write_b128 v12, v[0:3]
	ds_write_b128 v12, v[4:7] offset:6240
	v_fma_f64 v[3:4], v[8:9], v[26:27], v[13:14]
	buffer_store_dword v26, off, s[52:55], 0 offset:16 ; 4-byte Folded Spill
	s_nop 0
	buffer_store_dword v27, off, s[52:55], 0 offset:20 ; 4-byte Folded Spill
	buffer_store_dword v28, off, s[52:55], 0 offset:24 ; 4-byte Folded Spill
	;; [unrolled: 1-line block ×3, first 2 shown]
	v_mul_f64 v[19:20], v[40:41], v[32:33]
	v_fma_f64 v[7:8], v[40:41], v[30:31], v[17:18]
	buffer_store_dword v30, off, s[52:55], 0 offset:32 ; 4-byte Folded Spill
	s_nop 0
	buffer_store_dword v31, off, s[52:55], 0 offset:36 ; 4-byte Folded Spill
	buffer_store_dword v32, off, s[52:55], 0 offset:40 ; 4-byte Folded Spill
	;; [unrolled: 1-line block ×3, first 2 shown]
	s_waitcnt vmcnt(23)
	v_mul_f64 v[0:1], v[46:47], v[70:71]
	v_mul_f64 v[13:14], v[44:45], v[70:71]
	;; [unrolled: 1-line block ×3, first 2 shown]
	s_waitcnt vmcnt(18)
	v_mul_f64 v[21:22], v[60:61], v[82:83]
	v_add_co_u32_e32 v2, vcc, s0, v255
	s_movk_i32 s0, 0x9c
	v_fma_f64 v[5:6], v[10:11], v[26:27], -v[15:16]
	v_mul_f64 v[15:16], v[50:51], v[36:37]
	v_fma_f64 v[9:10], v[42:43], v[30:31], -v[19:20]
	ds_write_b128 v12, v[3:6] offset:1248
	ds_write_b128 v12, v[7:10] offset:7488
	v_fma_f64 v[4:5], v[44:45], v[68:69], v[0:1]
	buffer_store_dword v68, off, s[52:55], 0 offset:112 ; 4-byte Folded Spill
	s_nop 0
	buffer_store_dword v69, off, s[52:55], 0 offset:116 ; 4-byte Folded Spill
	buffer_store_dword v70, off, s[52:55], 0 offset:120 ; 4-byte Folded Spill
	;; [unrolled: 1-line block ×3, first 2 shown]
	v_fma_f64 v[8:9], v[48:49], v[34:35], v[15:16]
	buffer_store_dword v34, off, s[52:55], 0 offset:48 ; 4-byte Folded Spill
	s_nop 0
	buffer_store_dword v35, off, s[52:55], 0 offset:52 ; 4-byte Folded Spill
	buffer_store_dword v36, off, s[52:55], 0 offset:56 ; 4-byte Folded Spill
	;; [unrolled: 1-line block ×3, first 2 shown]
	v_mul_f64 v[0:1], v[54:55], v[78:79]
	v_mul_f64 v[15:16], v[58:59], v[74:75]
	;; [unrolled: 1-line block ×3, first 2 shown]
	s_waitcnt vmcnt(24)
	v_mul_f64 v[70:71], v[64:65], v[86:87]
	v_add_co_u32_e32 v3, vcc, s0, v255
	s_movk_i32 s0, 0xea
	v_fma_f64 v[40:41], v[52:53], v[76:77], v[0:1]
	v_fma_f64 v[44:45], v[56:57], v[72:73], v[15:16]
	;; [unrolled: 1-line block ×3, first 2 shown]
	v_lshlrev_b16_e32 v0, 1, v255
	v_lshl_add_u32 v0, v0, 4, v23
	v_add_co_u32_e32 v1, vcc, s0, v255
	v_cmp_gt_u16_e32 vcc, 26, v255
	v_fma_f64 v[6:7], v[46:47], v[68:69], -v[13:14]
	v_mul_f64 v[68:69], v[66:67], v[86:87]
	v_mul_f64 v[13:14], v[52:53], v[78:79]
	buffer_store_dword v76, off, s[52:55], 0 offset:80 ; 4-byte Folded Spill
	s_nop 0
	buffer_store_dword v77, off, s[52:55], 0 offset:84 ; 4-byte Folded Spill
	buffer_store_dword v78, off, s[52:55], 0 offset:88 ; 4-byte Folded Spill
	;; [unrolled: 1-line block ×3, first 2 shown]
	v_fma_f64 v[10:11], v[50:51], v[34:35], -v[17:18]
	v_mul_f64 v[17:18], v[56:57], v[74:75]
	buffer_store_dword v72, off, s[52:55], 0 offset:64 ; 4-byte Folded Spill
	s_nop 0
	buffer_store_dword v73, off, s[52:55], 0 offset:68 ; 4-byte Folded Spill
	buffer_store_dword v74, off, s[52:55], 0 offset:72 ; 4-byte Folded Spill
	;; [unrolled: 1-line block ×4, first 2 shown]
	s_nop 0
	buffer_store_dword v81, off, s[52:55], 0 offset:100 ; 4-byte Folded Spill
	buffer_store_dword v82, off, s[52:55], 0 offset:104 ; 4-byte Folded Spill
	;; [unrolled: 1-line block ×3, first 2 shown]
	v_fma_f64 v[52:53], v[64:65], v[84:85], v[68:69]
	buffer_store_dword v84, off, s[52:55], 0 offset:128 ; 4-byte Folded Spill
	s_nop 0
	buffer_store_dword v85, off, s[52:55], 0 offset:132 ; 4-byte Folded Spill
	buffer_store_dword v86, off, s[52:55], 0 offset:136 ; 4-byte Folded Spill
	;; [unrolled: 1-line block ×3, first 2 shown]
	ds_write_b128 v12, v[4:7] offset:2496
	ds_write_b128 v12, v[8:11] offset:8736
	v_fma_f64 v[42:43], v[54:55], v[76:77], -v[13:14]
	v_fma_f64 v[46:47], v[58:59], v[72:73], -v[17:18]
	;; [unrolled: 1-line block ×3, first 2 shown]
                                        ; implicit-def: $vgpr80_vgpr81
	v_fma_f64 v[54:55], v[66:67], v[84:85], -v[70:71]
	ds_write_b128 v12, v[40:43] offset:3744
	ds_write_b128 v12, v[44:47] offset:9984
	;; [unrolled: 1-line block ×4, first 2 shown]
	s_waitcnt vmcnt(0) lgkmcnt(0)
	s_barrier
	ds_read_b128 v[4:7], v12 offset:6240
	ds_read_b128 v[8:11], v12
	ds_read_b128 v[40:43], v12 offset:1248
	ds_read_b128 v[48:51], v12 offset:4992
	;; [unrolled: 1-line block ×8, first 2 shown]
	s_waitcnt lgkmcnt(0)
	v_add_f64 v[52:53], v[56:57], -v[52:53]
	v_add_f64 v[4:5], v[8:9], -v[4:5]
	;; [unrolled: 1-line block ×10, first 2 shown]
	v_fma_f64 v[8:9], v[8:9], 2.0, -v[4:5]
	v_fma_f64 v[10:11], v[10:11], 2.0, -v[6:7]
	;; [unrolled: 1-line block ×10, first 2 shown]
	s_barrier
	ds_write_b128 v0, v[8:11]
	buffer_store_dword v0, off, s[52:55], 0 offset:180 ; 4-byte Folded Spill
	ds_write_b128 v0, v[4:7] offset:16
	v_lshl_add_u32 v0, v2, 5, v23
	ds_write_b128 v0, v[40:43]
	buffer_store_dword v0, off, s[52:55], 0 offset:184 ; 4-byte Folded Spill
	ds_write_b128 v0, v[72:75] offset:16
	v_lshl_add_u32 v0, v3, 5, v23
	;; [unrolled: 4-line block ×4, first 2 shown]
	buffer_store_dword v23, off, s[52:55], 0 offset:160 ; 4-byte Folded Spill
	ds_write_b128 v0, v[48:51] offset:9984
	ds_write_b128 v0, v[44:47] offset:10000
	s_waitcnt vmcnt(0) lgkmcnt(0)
	s_barrier
	ds_read_b128 v[52:55], v12
	ds_read_b128 v[48:51], v12 offset:1248
	ds_read_b128 v[64:67], v12 offset:8320
	;; [unrolled: 1-line block ×8, first 2 shown]
                                        ; implicit-def: $vgpr84_vgpr85
	s_and_saveexec_b64 s[0:1], vcc
	s_cbranch_execz .LBB0_3
; %bb.2:
	ds_read_b128 v[44:47], v12 offset:3744
	ds_read_b128 v[80:83], v12 offset:7904
	;; [unrolled: 1-line block ×3, first 2 shown]
.LBB0_3:
	s_or_b64 exec, exec, s[0:1]
	v_and_b32_e32 v5, 1, v255
	v_lshlrev_b32_e32 v4, 5, v5
	global_load_dwordx4 v[100:103], v4, s[10:11]
	global_load_dwordx4 v[96:99], v4, s[10:11] offset:16
	v_lshrrev_b32_e32 v4, 1, v255
	v_lshrrev_b32_e32 v2, 1, v2
	;; [unrolled: 1-line block ×3, first 2 shown]
	v_mul_u32_u24_e32 v4, 6, v4
	v_mul_u32_u24_e32 v2, 6, v2
	;; [unrolled: 1-line block ×3, first 2 shown]
	v_or_b32_e32 v4, v4, v5
	v_or_b32_e32 v2, v2, v5
	;; [unrolled: 1-line block ×3, first 2 shown]
	v_lshlrev_b32_e32 v5, 4, v187
	v_lshl_add_u32 v23, v4, 4, v5
	v_lshl_add_u32 v22, v2, 4, v5
	;; [unrolled: 1-line block ×3, first 2 shown]
	s_mov_b32 s0, 0xe8584caa
	s_mov_b32 s1, 0x3febb67a
	;; [unrolled: 1-line block ×4, first 2 shown]
	v_lshrrev_b32_e32 v1, 1, v1
	s_waitcnt vmcnt(0) lgkmcnt(0)
	s_barrier
	v_mul_f64 v[2:3], v[78:79], v[102:103]
	v_mul_f64 v[4:5], v[76:77], v[102:103]
	;; [unrolled: 1-line block ×16, first 2 shown]
	v_fma_f64 v[2:3], v[76:77], v[100:101], -v[2:3]
	v_fma_f64 v[4:5], v[78:79], v[100:101], v[4:5]
	v_fma_f64 v[6:7], v[64:65], v[96:97], -v[6:7]
	v_fma_f64 v[8:9], v[66:67], v[96:97], v[8:9]
	;; [unrolled: 2-line block ×8, first 2 shown]
	v_add_f64 v[70:71], v[52:53], v[2:3]
	v_add_f64 v[72:73], v[2:3], v[6:7]
	v_add_f64 v[74:75], v[4:5], -v[8:9]
	v_add_f64 v[76:77], v[54:55], v[4:5]
	v_add_f64 v[4:5], v[4:5], v[8:9]
	;; [unrolled: 1-line block ×4, first 2 shown]
	v_add_f64 v[82:83], v[13:14], -v[17:18]
	v_add_f64 v[86:87], v[50:51], v[13:14]
	v_add_f64 v[13:14], v[13:14], v[17:18]
	;; [unrolled: 1-line block ×5, first 2 shown]
	v_add_f64 v[112:113], v[64:65], -v[68:69]
	v_add_f64 v[110:111], v[46:47], v[64:65]
	v_add_f64 v[64:65], v[64:65], v[68:69]
	v_add_f64 v[2:3], v[2:3], -v[6:7]
	v_add_f64 v[10:11], v[10:11], -v[15:16]
	v_add_f64 v[88:89], v[56:57], v[19:20]
	v_add_f64 v[92:93], v[40:41], -v[62:63]
	v_add_f64 v[94:95], v[58:59], v[40:41]
	;; [unrolled: 2-line block ×4, first 2 shown]
	v_fma_f64 v[6:7], v[72:73], -0.5, v[52:53]
	v_add_f64 v[42:43], v[76:77], v[8:9]
	v_fma_f64 v[4:5], v[4:5], -0.5, v[54:55]
	v_add_f64 v[84:85], v[78:79], v[15:16]
	;; [unrolled: 2-line block ×3, first 2 shown]
	v_fma_f64 v[13:14], v[13:14], -0.5, v[50:51]
	v_fma_f64 v[15:16], v[90:91], -0.5, v[56:57]
	;; [unrolled: 1-line block ×5, first 2 shown]
	v_add_f64 v[60:61], v[88:89], v[60:61]
	v_add_f64 v[62:63], v[94:95], v[62:63]
	;; [unrolled: 1-line block ×4, first 2 shown]
	v_fma_f64 v[72:73], v[74:75], s[0:1], v[6:7]
	v_fma_f64 v[104:105], v[74:75], s[2:3], v[6:7]
	;; [unrolled: 1-line block ×16, first 2 shown]
	ds_write_b128 v23, v[40:43]
	ds_write_b128 v23, v[72:75] offset:32
	buffer_store_dword v23, off, s[52:55], 0 offset:196 ; 4-byte Folded Spill
	ds_write_b128 v23, v[104:107] offset:64
	ds_write_b128 v22, v[84:87]
	ds_write_b128 v22, v[108:111] offset:32
	buffer_store_dword v22, off, s[52:55], 0 offset:176 ; 4-byte Folded Spill
	ds_write_b128 v22, v[56:59] offset:64
	;; [unrolled: 4-line block ×3, first 2 shown]
	buffer_store_dword v1, off, s[52:55], 0 offset:200 ; 4-byte Folded Spill
	s_and_saveexec_b64 s[0:1], vcc
	s_cbranch_execz .LBB0_5
; %bb.4:
	buffer_load_dword v1, off, s[52:55], 0 offset:200 ; 4-byte Folded Reload
	v_and_b32_e32 v2, 1, v255
	s_waitcnt vmcnt(0)
	v_mul_u32_u24_e32 v1, 6, v1
	v_or_b32_e32 v1, v1, v2
	v_lshlrev_b32_e32 v2, 4, v187
	v_lshl_add_u32 v1, v1, 4, v2
	ds_write_b128 v1, v[48:51]
	ds_write_b128 v1, v[44:47] offset:32
	ds_write_b128 v1, v[52:55] offset:64
.LBB0_5:
	s_or_b64 exec, exec, s[0:1]
	v_cmp_gt_u16_e64 s[0:1], 60, v255
	s_waitcnt vmcnt(0) lgkmcnt(0)
	s_barrier
	s_waitcnt lgkmcnt(0)
                                        ; implicit-def: $vgpr132_vgpr133
	s_and_saveexec_b64 s[2:3], s[0:1]
	s_cbranch_execz .LBB0_7
; %bb.6:
	ds_read_b128 v[40:43], v12
	ds_read_b128 v[72:75], v12 offset:960
	ds_read_b128 v[104:107], v12 offset:1920
	;; [unrolled: 1-line block ×12, first 2 shown]
.LBB0_7:
	s_or_b64 exec, exec, s[2:3]
	v_add_u32_e32 v0, 0x2700, v0
	s_movk_i32 s2, 0xab
	buffer_store_dword v0, off, s[52:55], 0 offset:204 ; 4-byte Folded Spill
	v_mul_lo_u16_sdwa v0, v255, s2 dst_sel:DWORD dst_unused:UNUSED_PAD src0_sel:BYTE_0 src1_sel:DWORD
	v_lshrrev_b16_e32 v0, 10, v0
	buffer_store_dword v0, off, s[52:55], 0 offset:164 ; 4-byte Folded Spill
	v_mul_lo_u16_e32 v0, 6, v0
	v_sub_u16_e32 v0, v255, v0
	v_and_b32_e32 v2, 0xff, v0
	v_mov_b32_e32 v0, s10
	s_movk_i32 s2, 0xc0
	v_mov_b32_e32 v1, s11
	v_mad_u64_u32 v[0:1], s[2:3], v2, s2, v[0:1]
	buffer_store_dword v2, off, s[52:55], 0 offset:168 ; 4-byte Folded Spill
	global_load_dwordx4 v[92:95], v[0:1], off offset:112
	global_load_dwordx4 v[88:91], v[0:1], off offset:96
	;; [unrolled: 1-line block ×8, first 2 shown]
	s_mov_b32 s22, 0x4267c47c
	s_mov_b32 s23, 0xbfddbe06
	;; [unrolled: 1-line block ×32, first 2 shown]
	s_waitcnt vmcnt(4) lgkmcnt(11)
	v_mul_f64 v[2:3], v[74:75], v[78:79]
	v_fma_f64 v[34:35], v[72:73], v[76:77], -v[2:3]
	v_mul_f64 v[2:3], v[72:73], v[78:79]
	v_fma_f64 v[36:37], v[74:75], v[76:77], v[2:3]
	s_waitcnt lgkmcnt(10)
	v_mul_f64 v[2:3], v[106:107], v[82:83]
	v_fma_f64 v[30:31], v[104:105], v[80:81], -v[2:3]
	v_mul_f64 v[2:3], v[104:105], v[82:83]
	v_fma_f64 v[32:33], v[106:107], v[80:81], v[2:3]
	s_waitcnt lgkmcnt(9)
	;; [unrolled: 5-line block ×3, first 2 shown]
	v_mul_f64 v[2:3], v[110:111], v[94:95]
	v_fma_f64 v[21:22], v[108:109], v[92:93], -v[2:3]
	v_mul_f64 v[2:3], v[108:109], v[94:95]
	v_fma_f64 v[23:24], v[110:111], v[92:93], v[2:3]
	global_load_dwordx4 v[84:87], v[0:1], off offset:240
	global_load_dwordx4 v[104:107], v[0:1], off offset:224
	;; [unrolled: 1-line block ×4, first 2 shown]
	s_waitcnt vmcnt(4) lgkmcnt(7)
	v_mul_f64 v[2:3], v[58:59], v[126:127]
	v_fma_f64 v[154:155], v[56:57], v[124:125], -v[2:3]
	v_mul_f64 v[2:3], v[56:57], v[126:127]
	v_fma_f64 v[156:157], v[58:59], v[124:125], v[2:3]
	s_waitcnt lgkmcnt(6)
	v_mul_f64 v[2:3], v[62:63], v[122:123]
	v_fma_f64 v[58:59], v[60:61], v[120:121], -v[2:3]
	v_mul_f64 v[2:3], v[60:61], v[122:123]
	v_fma_f64 v[152:153], v[62:63], v[120:121], v[2:3]
	s_waitcnt lgkmcnt(5)
	;; [unrolled: 5-line block ×3, first 2 shown]
	v_mul_f64 v[2:3], v[70:71], v[114:115]
	v_fma_f64 v[38:39], v[68:69], v[112:113], -v[2:3]
	v_mul_f64 v[2:3], v[68:69], v[114:115]
	v_add_f64 v[170:171], v[154:155], v[38:39]
	v_fma_f64 v[62:63], v[70:71], v[112:113], v[2:3]
	s_waitcnt vmcnt(0) lgkmcnt(3)
	v_mul_f64 v[0:1], v[50:51], v[130:131]
	v_add_f64 v[176:177], v[156:157], v[62:63]
	v_fma_f64 v[70:71], v[48:49], v[128:129], -v[0:1]
	v_mul_f64 v[0:1], v[48:49], v[130:131]
	v_add_f64 v[241:242], v[21:22], v[70:71]
	v_fma_f64 v[164:165], v[50:51], v[128:129], v[0:1]
	s_waitcnt lgkmcnt(2)
	v_mul_f64 v[0:1], v[46:47], v[110:111]
	v_add_f64 v[249:250], v[21:22], -v[70:71]
	v_add_f64 v[182:183], v[23:24], -v[164:165]
	v_fma_f64 v[66:67], v[44:45], v[108:109], -v[0:1]
	v_mul_f64 v[0:1], v[44:45], v[110:111]
	v_mul_f64 v[217:218], v[249:250], s[28:29]
	;; [unrolled: 1-line block ×5, first 2 shown]
	v_add_f64 v[223:224], v[26:27], v[66:67]
	v_fma_f64 v[68:69], v[46:47], v[108:109], v[0:1]
	s_waitcnt lgkmcnt(1)
	v_mul_f64 v[0:1], v[54:55], v[106:107]
	v_add_f64 v[227:228], v[26:27], -v[66:67]
	v_mul_f64 v[221:222], v[182:183], s[40:41]
	v_mul_f64 v[231:232], v[182:183], s[42:43]
	v_add_f64 v[243:244], v[28:29], -v[68:69]
	v_fma_f64 v[64:65], v[52:53], v[104:105], -v[0:1]
	v_mul_f64 v[0:1], v[52:53], v[106:107]
	v_add_f64 v[229:230], v[28:29], v[68:69]
	v_mul_f64 v[203:204], v[227:228], s[20:21]
	v_mul_f64 v[211:212], v[227:228], s[30:31]
	;; [unrolled: 1-line block ×4, first 2 shown]
	v_add_f64 v[195:196], v[30:31], v[64:65]
	v_fma_f64 v[52:53], v[54:55], v[104:105], v[0:1]
	s_waitcnt lgkmcnt(0)
	v_mul_f64 v[0:1], v[134:135], v[86:87]
	v_add_f64 v[199:200], v[30:31], -v[64:65]
	v_mul_f64 v[213:214], v[243:244], s[38:39]
	v_add_f64 v[54:55], v[23:24], v[164:165]
	v_add_f64 v[207:208], v[32:33], -v[52:53]
	v_fma_f64 v[48:49], v[132:133], v[84:85], -v[0:1]
	v_mul_f64 v[0:1], v[132:133], v[86:87]
	v_add_f64 v[205:206], v[32:33], v[52:53]
	v_mul_f64 v[148:149], v[199:200], s[16:17]
	v_mul_f64 v[158:159], v[199:200], s[28:29]
	;; [unrolled: 1-line block ×4, first 2 shown]
	v_add_f64 v[178:179], v[34:35], v[48:49]
	v_fma_f64 v[50:51], v[134:135], v[84:85], v[0:1]
	v_add_f64 v[185:186], v[34:35], -v[48:49]
	v_mul_f64 v[160:161], v[207:208], s[28:29]
	v_mul_f64 v[188:189], v[207:208], s[30:31]
	v_fma_f64 v[13:14], v[195:196], s[14:15], v[146:147]
	v_add_f64 v[191:192], v[36:37], -v[50:51]
	v_add_f64 v[193:194], v[36:37], v[50:51]
	v_mul_f64 v[74:75], v[185:186], s[22:23]
	v_mul_f64 v[162:163], v[185:186], s[16:17]
	;; [unrolled: 1-line block ×5, first 2 shown]
	v_fma_f64 v[2:3], v[193:194], s[2:3], -v[74:75]
	v_fma_f64 v[6:7], v[193:194], s[14:15], -v[162:163]
	v_mul_f64 v[150:151], v[191:192], s[20:21]
	v_fma_f64 v[10:11], v[193:194], s[18:19], -v[197:198]
	v_fma_f64 v[0:1], v[178:179], s[2:3], v[56:57]
	v_fma_f64 v[4:5], v[178:179], s[14:15], v[144:145]
	v_add_f64 v[2:3], v[42:43], v[2:3]
	v_add_f64 v[6:7], v[42:43], v[6:7]
	v_fma_f64 v[8:9], v[178:179], s[18:19], v[150:151]
	v_add_f64 v[10:11], v[42:43], v[10:11]
	v_add_f64 v[0:1], v[40:41], v[0:1]
	;; [unrolled: 1-line block ×5, first 2 shown]
	v_fma_f64 v[13:14], v[205:206], s[14:15], -v[148:149]
	v_add_f64 v[2:3], v[13:14], v[2:3]
	v_fma_f64 v[13:14], v[195:196], s[26:27], v[160:161]
	v_add_f64 v[4:5], v[13:14], v[4:5]
	v_fma_f64 v[13:14], v[205:206], s[26:27], -v[158:159]
	v_add_f64 v[6:7], v[13:14], v[6:7]
	v_fma_f64 v[13:14], v[195:196], s[24:25], v[188:189]
	v_add_f64 v[8:9], v[13:14], v[8:9]
	v_fma_f64 v[13:14], v[205:206], s[24:25], -v[201:202]
	v_add_f64 v[10:11], v[13:14], v[10:11]
	v_mul_f64 v[13:14], v[243:244], s[20:21]
	buffer_store_dword v13, off, s[52:55], 0 offset:208 ; 4-byte Folded Spill
	s_nop 0
	buffer_store_dword v14, off, s[52:55], 0 offset:212 ; 4-byte Folded Spill
	s_waitcnt vmcnt(0)
	s_barrier
	v_fma_f64 v[13:14], v[223:224], s[18:19], v[13:14]
	v_add_f64 v[0:1], v[13:14], v[0:1]
	v_fma_f64 v[13:14], v[229:230], s[18:19], -v[203:204]
	v_add_f64 v[2:3], v[13:14], v[2:3]
	v_fma_f64 v[13:14], v[223:224], s[24:25], v[209:210]
	v_add_f64 v[4:5], v[13:14], v[4:5]
	v_fma_f64 v[13:14], v[229:230], s[24:25], -v[211:212]
	v_add_f64 v[6:7], v[13:14], v[6:7]
	;; [unrolled: 4-line block ×5, first 2 shown]
	v_fma_f64 v[0:1], v[241:242], s[2:3], v[231:232]
	v_add_f64 v[15:16], v[0:1], v[8:9]
	v_fma_f64 v[0:1], v[54:55], s[2:3], -v[237:238]
	v_add_f64 v[8:9], v[156:157], -v[62:63]
	v_add_f64 v[10:11], v[0:1], v[10:11]
	v_add_f64 v[0:1], v[154:155], -v[38:39]
	v_mul_f64 v[233:234], v[8:9], s[46:47]
	v_mul_f64 v[239:240], v[8:9], s[44:45]
	;; [unrolled: 1-line block ×4, first 2 shown]
	v_fma_f64 v[17:18], v[170:171], s[36:37], v[233:234]
	v_mul_f64 v[245:246], v[0:1], s[44:45]
	v_mul_f64 v[166:167], v[0:1], s[16:17]
	v_add_f64 v[13:14], v[17:18], v[13:14]
	v_fma_f64 v[17:18], v[176:177], s[36:37], -v[235:236]
	v_add_f64 v[17:18], v[17:18], v[2:3]
	v_fma_f64 v[2:3], v[170:171], s[18:19], v[239:240]
	v_add_f64 v[19:20], v[2:3], v[4:5]
	v_fma_f64 v[2:3], v[176:177], s[18:19], -v[245:246]
	v_add_f64 v[4:5], v[152:153], v[60:61]
	v_add_f64 v[44:45], v[2:3], v[6:7]
	v_fma_f64 v[2:3], v[170:171], s[14:15], v[247:248]
	v_add_f64 v[6:7], v[58:59], -v[72:73]
	v_add_f64 v[15:16], v[2:3], v[15:16]
	v_fma_f64 v[2:3], v[176:177], s[14:15], -v[166:167]
	v_mul_f64 v[253:254], v[6:7], s[30:31]
	v_mul_f64 v[172:173], v[6:7], s[42:43]
	;; [unrolled: 1-line block ×3, first 2 shown]
	v_add_f64 v[46:47], v[2:3], v[10:11]
	v_add_f64 v[10:11], v[152:153], -v[60:61]
	v_add_f64 v[2:3], v[58:59], v[72:73]
	v_mul_f64 v[251:252], v[10:11], s[30:31]
	v_mul_f64 v[168:169], v[10:11], s[42:43]
	v_mul_f64 v[174:175], v[10:11], s[46:47]
	v_fma_f64 v[132:133], v[2:3], s[24:25], v[251:252]
	v_add_f64 v[132:133], v[132:133], v[13:14]
	v_fma_f64 v[13:14], v[4:5], s[24:25], -v[253:254]
	v_add_f64 v[134:135], v[13:14], v[17:18]
	v_fma_f64 v[13:14], v[2:3], s[2:3], v[168:169]
	v_add_f64 v[136:137], v[13:14], v[19:20]
	v_fma_f64 v[13:14], v[4:5], s[2:3], -v[172:173]
	v_add_f64 v[138:139], v[13:14], v[44:45]
	;; [unrolled: 4-line block ×3, first 2 shown]
	s_and_saveexec_b64 s[34:35], s[0:1]
	s_cbranch_execz .LBB0_9
; %bb.8:
	v_mul_f64 v[15:16], v[178:179], s[2:3]
	v_mul_f64 v[44:45], v[193:194], s[14:15]
	;; [unrolled: 1-line block ×3, first 2 shown]
	s_mov_b32 s51, 0x3fcea1e5
	s_mov_b32 s50, s30
	v_mul_f64 v[17:18], v[205:206], s[2:3]
	s_mov_b32 s49, 0x3fea55e2
	s_mov_b32 s48, s16
	buffer_store_dword v15, off, s[52:55], 0 offset:220 ; 4-byte Folded Spill
	s_nop 0
	buffer_store_dword v16, off, s[52:55], 0 offset:224 ; 4-byte Folded Spill
	v_mul_f64 v[15:16], v[193:194], s[2:3]
	v_fma_f64 v[19:20], v[185:186], s[50:51], v[13:14]
	v_fma_f64 v[13:14], v[185:186], s[30:31], v[13:14]
	buffer_store_dword v15, off, s[52:55], 0 offset:236 ; 4-byte Folded Spill
	s_nop 0
	buffer_store_dword v16, off, s[52:55], 0 offset:240 ; 4-byte Folded Spill
	v_mul_f64 v[15:16], v[178:179], s[14:15]
	v_add_f64 v[19:20], v[42:43], v[19:20]
	v_add_f64 v[13:14], v[42:43], v[13:14]
	buffer_store_dword v15, off, s[52:55], 0 offset:228 ; 4-byte Folded Spill
	s_nop 0
	buffer_store_dword v16, off, s[52:55], 0 offset:232 ; 4-byte Folded Spill
	buffer_store_dword v44, off, s[52:55], 0 offset:364 ; 4-byte Folded Spill
	s_nop 0
	buffer_store_dword v45, off, s[52:55], 0 offset:368 ; 4-byte Folded Spill
	v_mul_f64 v[44:45], v[178:179], s[18:19]
	v_mul_f64 v[15:16], v[191:192], s[30:31]
	buffer_store_dword v44, off, s[52:55], 0 offset:292 ; 4-byte Folded Spill
	s_nop 0
	buffer_store_dword v45, off, s[52:55], 0 offset:296 ; 4-byte Folded Spill
	v_mul_f64 v[44:45], v[207:208], s[42:43]
	v_fma_f64 v[46:47], v[178:179], s[24:25], v[15:16]
	buffer_store_dword v21, off, s[52:55], 0 offset:244 ; 4-byte Folded Spill
	s_nop 0
	buffer_store_dword v22, off, s[52:55], 0 offset:248 ; 4-byte Folded Spill
	buffer_store_dword v187, off, s[52:55], 0 offset:216 ; 4-byte Folded Spill
	;; [unrolled: 1-line block ×3, first 2 shown]
	s_nop 0
	buffer_store_dword v189, off, s[52:55], 0 offset:280 ; 4-byte Folded Spill
	buffer_store_dword v23, off, s[52:55], 0 offset:252 ; 4-byte Folded Spill
	s_nop 0
	buffer_store_dword v24, off, s[52:55], 0 offset:256 ; 4-byte Folded Spill
	buffer_store_dword v26, off, s[52:55], 0 offset:268 ; 4-byte Folded Spill
	;; [unrolled: 3-line block ×4, first 2 shown]
	s_nop 0
	buffer_store_dword v31, off, s[52:55], 0 offset:312 ; 4-byte Folded Spill
	v_mul_f64 v[187:188], v[229:230], s[36:37]
	v_fma_f64 v[23:24], v[199:200], s[22:23], v[17:18]
	v_mul_f64 v[28:29], v[243:244], s[46:47]
	v_fma_f64 v[30:31], v[195:196], s[2:3], v[44:45]
	v_add_f64 v[46:47], v[40:41], v[46:47]
	buffer_store_dword v32, off, s[52:55], 0 offset:324 ; 4-byte Folded Spill
	s_nop 0
	buffer_store_dword v33, off, s[52:55], 0 offset:328 ; 4-byte Folded Spill
	buffer_store_dword v34, off, s[52:55], 0 offset:340 ; 4-byte Folded Spill
	s_nop 0
	buffer_store_dword v35, off, s[52:55], 0 offset:344 ; 4-byte Folded Spill
	v_mul_f64 v[26:27], v[54:55], s[14:15]
	v_fma_f64 v[32:33], v[227:228], s[40:41], v[187:188]
	v_add_f64 v[19:20], v[23:24], v[19:20]
	v_mul_f64 v[23:24], v[182:183], s[48:49]
	v_fma_f64 v[34:35], v[223:224], s[36:37], v[28:29]
	v_add_f64 v[30:31], v[30:31], v[46:47]
	buffer_store_dword v36, off, s[52:55], 0 offset:356 ; 4-byte Folded Spill
	s_nop 0
	buffer_store_dword v37, off, s[52:55], 0 offset:360 ; 4-byte Folded Spill
	buffer_store_dword v38, off, s[52:55], 0 offset:260 ; 4-byte Folded Spill
	s_nop 0
	buffer_store_dword v39, off, s[52:55], 0 offset:264 ; 4-byte Folded Spill
	v_fma_f64 v[36:37], v[249:250], s[16:17], v[26:27]
	v_mul_f64 v[46:47], v[176:177], s[26:27]
	v_add_f64 v[19:20], v[32:33], v[19:20]
	v_mul_f64 v[32:33], v[8:9], s[28:29]
	v_fma_f64 v[38:39], v[241:242], s[14:15], v[23:24]
	v_add_f64 v[30:31], v[34:35], v[30:31]
	buffer_store_dword v72, off, s[52:55], 0 offset:300 ; 4-byte Folded Spill
	s_nop 0
	buffer_store_dword v73, off, s[52:55], 0 offset:304 ; 4-byte Folded Spill
	v_fma_f64 v[17:18], v[199:200], s[42:43], v[17:18]
	v_mul_f64 v[34:35], v[4:5], s[18:19]
	v_fma_f64 v[72:73], v[0:1], s[38:39], v[46:47]
	v_add_f64 v[19:20], v[36:37], v[19:20]
	v_fma_f64 v[36:37], v[170:171], s[26:27], v[32:33]
	v_fma_f64 v[187:188], v[227:228], s[46:47], v[187:188]
	v_add_f64 v[30:31], v[38:39], v[30:31]
	v_mul_f64 v[38:39], v[195:196], s[14:15]
	v_add_f64 v[13:14], v[17:18], v[13:14]
	v_mul_f64 v[17:18], v[10:11], s[44:45]
	v_fma_f64 v[189:190], v[6:7], s[20:21], v[34:35]
	v_fma_f64 v[15:16], v[178:179], s[24:25], -v[15:16]
	v_add_f64 v[19:20], v[72:73], v[19:20]
	buffer_store_dword v38, off, s[52:55], 0 offset:316 ; 4-byte Folded Spill
	s_nop 0
	buffer_store_dword v39, off, s[52:55], 0 offset:320 ; 4-byte Folded Spill
	v_add_f64 v[30:31], v[36:37], v[30:31]
	v_mul_f64 v[36:37], v[205:206], s[14:15]
	buffer_store_dword v36, off, s[52:55], 0 offset:332 ; 4-byte Folded Spill
	s_nop 0
	buffer_store_dword v37, off, s[52:55], 0 offset:336 ; 4-byte Folded Spill
	buffer_store_dword v74, off, s[52:55], 0 offset:348 ; 4-byte Folded Spill
	s_nop 0
	buffer_store_dword v75, off, s[52:55], 0 offset:352 ; 4-byte Folded Spill
	v_fma_f64 v[26:27], v[249:250], s[48:49], v[26:27]
	v_add_f64 v[13:14], v[187:188], v[13:14]
	v_fma_f64 v[72:73], v[2:3], s[18:19], v[17:18]
	v_fma_f64 v[187:188], v[195:196], s[2:3], -v[44:45]
	v_add_f64 v[15:16], v[40:41], v[15:16]
	v_fma_f64 v[74:75], v[0:1], s[28:29], v[46:47]
	v_add_f64 v[46:47], v[189:190], v[19:20]
	v_mul_f64 v[19:20], v[193:194], s[36:37]
	v_fma_f64 v[23:24], v[241:242], s[14:15], -v[23:24]
	v_add_f64 v[13:14], v[26:27], v[13:14]
	v_add_f64 v[44:45], v[72:73], v[30:31]
	v_fma_f64 v[26:27], v[223:224], s[36:37], -v[28:29]
	v_mul_f64 v[28:29], v[191:192], s[46:47]
	v_add_f64 v[15:16], v[187:188], v[15:16]
	v_fma_f64 v[30:31], v[6:7], s[44:45], v[34:35]
	v_mul_f64 v[34:35], v[205:206], s[18:19]
	v_fma_f64 v[72:73], v[185:186], s[40:41], v[19:20]
	v_add_f64 v[13:14], v[74:75], v[13:14]
	v_mul_f64 v[74:75], v[207:208], s[44:45]
	buffer_store_dword v144, off, s[52:55], 0 offset:380 ; 4-byte Folded Spill
	s_nop 0
	buffer_store_dword v145, off, s[52:55], 0 offset:384 ; 4-byte Folded Spill
	v_fma_f64 v[187:188], v[178:179], s[36:37], v[28:29]
	v_add_f64 v[15:16], v[26:27], v[15:16]
	v_fma_f64 v[26:27], v[170:171], s[26:27], -v[32:33]
	v_mul_f64 v[32:33], v[229:230], s[14:15]
	v_fma_f64 v[189:190], v[199:200], s[20:21], v[34:35]
	v_add_f64 v[72:73], v[42:43], v[72:73]
	buffer_store_dword v146, off, s[52:55], 0 offset:372 ; 4-byte Folded Spill
	s_nop 0
	buffer_store_dword v147, off, s[52:55], 0 offset:376 ; 4-byte Folded Spill
	v_mov_b32_e32 v38, v148
	v_mul_f64 v[144:145], v[243:244], s[16:17]
	v_fma_f64 v[146:147], v[195:196], s[18:19], v[74:75]
	v_add_f64 v[187:188], v[40:41], v[187:188]
	v_add_f64 v[15:16], v[23:24], v[15:16]
	v_mul_f64 v[23:24], v[54:55], s[24:25]
	v_mov_b32_e32 v39, v149
	v_fma_f64 v[148:149], v[227:228], s[48:49], v[32:33]
	v_add_f64 v[72:73], v[189:190], v[72:73]
	buffer_store_dword v60, off, s[52:55], 0 offset:388 ; 4-byte Folded Spill
	s_nop 0
	buffer_store_dword v61, off, s[52:55], 0 offset:392 ; 4-byte Folded Spill
	v_mov_b32_e32 v60, v150
	v_fma_f64 v[17:18], v[2:3], s[18:19], -v[17:18]
	v_mul_f64 v[189:190], v[182:183], s[50:51]
	v_mov_b32_e32 v61, v151
	v_fma_f64 v[150:151], v[223:224], s[14:15], v[144:145]
	v_add_f64 v[146:147], v[146:147], v[187:188]
	v_add_f64 v[26:27], v[26:27], v[15:16]
	;; [unrolled: 1-line block ×3, first 2 shown]
	v_mul_f64 v[30:31], v[176:177], s[2:3]
	v_fma_f64 v[187:188], v[249:250], s[30:31], v[23:24]
	v_add_f64 v[72:73], v[148:149], v[72:73]
	v_fma_f64 v[19:20], v[185:186], s[46:47], v[19:20]
	v_mov_b32_e32 v36, v160
	v_mov_b32_e32 v37, v161
	v_mov_b32_e32 v161, v153
	v_mul_f64 v[148:149], v[8:9], s[42:43]
	v_mov_b32_e32 v160, v152
	v_fma_f64 v[152:153], v[241:242], s[24:25], v[189:190]
	v_add_f64 v[146:147], v[150:151], v[146:147]
	v_add_f64 v[13:14], v[17:18], v[26:27]
	v_mul_f64 v[26:27], v[4:5], s[26:27]
	v_fma_f64 v[17:18], v[0:1], s[22:23], v[30:31]
	v_add_f64 v[72:73], v[187:188], v[72:73]
	v_fma_f64 v[34:35], v[199:200], s[44:45], v[34:35]
	v_add_f64 v[19:20], v[42:43], v[19:20]
	v_fma_f64 v[28:29], v[178:179], s[36:37], -v[28:29]
	v_mul_f64 v[150:151], v[10:11], s[28:29]
	v_add_f64 v[146:147], v[152:153], v[146:147]
	v_fma_f64 v[152:153], v[170:171], s[2:3], v[148:149]
	v_fma_f64 v[74:75], v[195:196], s[18:19], -v[74:75]
	v_add_f64 v[17:18], v[17:18], v[72:73]
	v_fma_f64 v[72:73], v[6:7], s[38:39], v[26:27]
	v_add_f64 v[34:35], v[34:35], v[19:20]
	v_add_f64 v[28:29], v[40:41], v[28:29]
	v_fma_f64 v[32:33], v[227:228], s[16:17], v[32:33]
	buffer_store_dword v48, off, s[52:55], 0 offset:396 ; 4-byte Folded Spill
	s_nop 0
	buffer_store_dword v49, off, s[52:55], 0 offset:400 ; 4-byte Folded Spill
	v_mov_b32_e32 v48, v154
	v_mov_b32_e32 v49, v155
	v_fma_f64 v[154:155], v[2:3], s[26:27], v[150:151]
	v_add_f64 v[146:147], v[152:153], v[146:147]
	v_add_f64 v[19:20], v[72:73], v[17:18]
	v_fma_f64 v[23:24], v[249:250], s[50:51], v[23:24]
	v_fma_f64 v[72:73], v[223:224], s[14:15], -v[144:145]
	v_mul_f64 v[144:145], v[193:194], s[26:27]
	v_add_f64 v[28:29], v[74:75], v[28:29]
	v_add_f64 v[32:33], v[32:33], v[34:35]
	v_mul_f64 v[34:35], v[191:192], s[28:29]
	v_add_f64 v[17:18], v[154:155], v[146:147]
	v_fma_f64 v[74:75], v[241:242], s[24:25], -v[189:190]
	v_mul_f64 v[146:147], v[205:206], s[36:37]
	v_mul_f64 v[21:22], v[193:194], s[18:19]
	v_fma_f64 v[154:155], v[185:186], s[38:39], v[144:145]
	v_add_f64 v[28:29], v[72:73], v[28:29]
	v_add_f64 v[23:24], v[23:24], v[32:33]
	v_mul_f64 v[32:33], v[207:208], s[40:41]
	v_fma_f64 v[72:73], v[178:179], s[26:27], v[34:35]
	v_fma_f64 v[30:31], v[0:1], s[42:43], v[30:31]
	v_fma_f64 v[148:149], v[170:171], s[2:3], -v[148:149]
	v_mul_f64 v[189:190], v[229:230], s[2:3]
	v_fma_f64 v[191:192], v[199:200], s[46:47], v[146:147]
	v_add_f64 v[154:155], v[42:43], v[154:155]
	v_add_f64 v[28:29], v[74:75], v[28:29]
	v_mul_f64 v[74:75], v[243:244], s[42:43]
	v_fma_f64 v[193:194], v[195:196], s[36:37], v[32:33]
	v_add_f64 v[72:73], v[40:41], v[72:73]
	v_add_f64 v[23:24], v[30:31], v[23:24]
	v_mul_f64 v[30:31], v[54:55], s[18:19]
	v_fma_f64 v[207:208], v[227:228], s[22:23], v[189:190]
	v_add_f64 v[154:155], v[191:192], v[154:155]
	v_fma_f64 v[26:27], v[6:7], s[28:29], v[26:27]
	v_add_f64 v[28:29], v[148:149], v[28:29]
	;; [unrolled: 2-line block ×3, first 2 shown]
	v_mul_f64 v[182:183], v[182:183], s[20:21]
	v_fma_f64 v[191:192], v[249:250], s[44:45], v[30:31]
	v_fma_f64 v[144:145], v[185:186], s[28:29], v[144:145]
	v_add_f64 v[154:155], v[207:208], v[154:155]
	v_add_f64 v[193:194], v[26:27], v[23:24]
	v_mul_f64 v[23:24], v[8:9], s[50:51]
	v_fma_f64 v[146:147], v[199:200], s[40:41], v[146:147]
	v_add_f64 v[8:9], v[148:149], v[72:73]
	v_fma_f64 v[26:27], v[241:242], s[18:19], v[182:183]
	v_mul_f64 v[207:208], v[176:177], s[24:25]
	v_add_f64 v[144:145], v[42:43], v[144:145]
	v_add_f64 v[72:73], v[191:192], v[154:155]
	v_fma_f64 v[34:35], v[178:179], s[26:27], -v[34:35]
	v_fma_f64 v[154:155], v[170:171], s[24:25], v[23:24]
	v_fma_f64 v[32:33], v[195:196], s[36:37], -v[32:33]
	v_fma_f64 v[30:31], v[249:250], s[20:21], v[30:31]
	v_add_f64 v[8:9], v[26:27], v[8:9]
	v_fma_f64 v[148:149], v[0:1], s[30:31], v[207:208]
	v_add_f64 v[144:145], v[146:147], v[144:145]
	;; [unrolled: 2-line block ×3, first 2 shown]
	v_fma_f64 v[74:75], v[223:224], s[2:3], -v[74:75]
	v_mul_f64 v[10:11], v[10:11], s[48:49]
	v_fma_f64 v[150:151], v[2:3], s[26:27], -v[150:151]
	v_add_f64 v[154:155], v[154:155], v[8:9]
	v_fma_f64 v[8:9], v[227:228], s[42:43], v[189:190]
	v_add_f64 v[72:73], v[148:149], v[72:73]
	v_add_f64 v[21:22], v[197:198], v[21:22]
	;; [unrolled: 1-line block ×3, first 2 shown]
	v_mul_f64 v[197:198], v[2:3], s[2:3]
	v_mul_f64 v[148:149], v[229:230], s[24:25]
	v_add_f64 v[191:192], v[150:151], v[28:29]
	v_mul_f64 v[150:151], v[229:230], s[18:19]
	v_add_f64 v[8:9], v[8:9], v[144:145]
	v_mul_f64 v[144:145], v[4:5], s[14:15]
	v_mul_f64 v[199:200], v[229:230], s[26:27]
	v_add_f64 v[32:33], v[74:75], v[32:33]
	v_mul_f64 v[74:75], v[2:3], s[24:25]
	v_mul_f64 v[229:230], v[241:242], s[26:27]
	;; [unrolled: 1-line block ×4, first 2 shown]
	v_add_f64 v[8:9], v[30:31], v[8:9]
	v_fma_f64 v[30:31], v[6:7], s[16:17], v[144:145]
	v_fma_f64 v[144:145], v[6:7], s[48:49], v[144:145]
	;; [unrolled: 1-line block ×3, first 2 shown]
	v_fma_f64 v[182:183], v[241:242], s[18:19], -v[182:183]
	v_mul_f64 v[241:242], v[4:5], s[24:25]
	v_mul_f64 v[187:188], v[195:196], s[26:27]
	;; [unrolled: 1-line block ×3, first 2 shown]
	v_add_f64 v[0:1], v[0:1], v[8:9]
	v_add_f64 v[8:9], v[30:31], v[72:73]
	v_mul_f64 v[72:73], v[2:3], s[36:37]
	v_fma_f64 v[2:3], v[2:3], s[14:15], -v[10:11]
	buffer_load_dword v10, off, s[52:55], 0 offset:364 ; 4-byte Folded Reload
	buffer_load_dword v11, off, s[52:55], 0 offset:368 ; 4-byte Folded Reload
	v_add_f64 v[6:7], v[6:7], v[154:155]
	v_mul_f64 v[30:31], v[4:5], s[2:3]
	v_mul_f64 v[154:155], v[4:5], s[36:37]
	v_add_f64 v[4:5], v[144:145], v[0:1]
	buffer_load_dword v144, off, s[52:55], 0 offset:356 ; 4-byte Folded Reload
	buffer_load_dword v145, off, s[52:55], 0 offset:360 ; 4-byte Folded Reload
	v_mul_f64 v[28:29], v[223:224], s[18:19]
	v_mul_f64 v[26:27], v[223:224], s[24:25]
	;; [unrolled: 1-line block ×6, first 2 shown]
	v_fma_f64 v[23:24], v[170:171], s[24:25], -v[23:24]
	v_add_f64 v[32:33], v[182:183], v[32:33]
	v_mul_f64 v[152:153], v[205:206], s[26:27]
	v_mul_f64 v[205:206], v[205:206], s[24:25]
	v_add_f64 v[21:22], v[42:43], v[21:22]
	v_mul_f64 v[189:190], v[54:55], s[26:27]
	v_mul_f64 v[146:147], v[54:55], s[36:37]
	;; [unrolled: 1-line block ×4, first 2 shown]
	v_add_f64 v[23:24], v[23:24], v[32:33]
	v_add_f64 v[32:33], v[219:220], v[199:200]
	;; [unrolled: 1-line block ×3, first 2 shown]
	v_mul_f64 v[227:228], v[176:177], s[36:37]
	v_mul_f64 v[176:177], v[176:177], s[14:15]
	v_add_f64 v[26:27], v[26:27], -v[209:210]
	v_add_f64 v[54:55], v[237:238], v[54:55]
	v_add_f64 v[34:35], v[245:246], v[34:35]
	v_add_f64 v[30:31], v[172:173], v[30:31]
	v_add_f64 v[72:73], v[72:73], -v[174:175]
	v_add_f64 v[0:1], v[0:1], v[21:22]
	v_add_f64 v[21:22], v[158:159], v[152:153]
	;; [unrolled: 1-line block ×8, first 2 shown]
	v_add_f64 v[146:147], v[207:208], -v[231:232]
	v_add_f64 v[0:1], v[148:149], v[0:1]
	s_waitcnt vmcnt(2)
	v_add_f64 v[10:11], v[162:163], v[10:11]
	buffer_load_dword v162, off, s[52:55], 0 offset:340 ; 4-byte Folded Reload
	buffer_load_dword v163, off, s[52:55], 0 offset:344 ; 4-byte Folded Reload
	s_waitcnt vmcnt(2)
	v_add_f64 v[144:145], v[42:43], v[144:145]
	v_add_f64 v[10:11], v[42:43], v[10:11]
	;; [unrolled: 1-line block ×5, first 2 shown]
	v_add_f64 v[54:55], v[249:250], -v[247:248]
	v_add_f64 v[10:11], v[34:35], v[10:11]
	s_waitcnt vmcnt(0)
	v_add_f64 v[170:171], v[40:41], v[162:163]
	buffer_load_dword v162, off, s[52:55], 0 offset:292 ; 4-byte Folded Reload
	buffer_load_dword v163, off, s[52:55], 0 offset:296 ; 4-byte Folded Reload
	s_waitcnt vmcnt(0)
	v_add_f64 v[182:183], v[162:163], -v[60:61]
	buffer_load_dword v60, off, s[52:55], 0 offset:324 ; 4-byte Folded Reload
	buffer_load_dword v61, off, s[52:55], 0 offset:328 ; 4-byte Folded Reload
	v_add_f64 v[182:183], v[40:41], v[182:183]
	s_waitcnt vmcnt(0)
	v_add_f64 v[144:145], v[144:145], v[60:61]
	buffer_load_dword v60, off, s[52:55], 0 offset:308 ; 4-byte Folded Reload
	buffer_load_dword v61, off, s[52:55], 0 offset:312 ; 4-byte Folded Reload
	s_waitcnt vmcnt(0)
	v_add_f64 v[152:153], v[170:171], v[60:61]
	buffer_load_dword v60, off, s[52:55], 0 offset:276 ; 4-byte Folded Reload
	buffer_load_dword v61, off, s[52:55], 0 offset:280 ; 4-byte Folded Reload
	;; [unrolled: 1-line block ×4, first 2 shown]
	s_waitcnt vmcnt(2)
	v_add_f64 v[170:171], v[243:244], -v[60:61]
	buffer_load_dword v60, off, s[52:55], 0 offset:268 ; 4-byte Folded Reload
	buffer_load_dword v61, off, s[52:55], 0 offset:272 ; 4-byte Folded Reload
	;; [unrolled: 1-line block ×4, first 2 shown]
	s_waitcnt vmcnt(4)
	v_add_f64 v[21:22], v[144:145], v[21:22]
	v_add_f64 v[166:167], v[170:171], v[182:183]
	s_waitcnt vmcnt(2)
	v_add_f64 v[144:145], v[152:153], v[60:61]
	s_waitcnt vmcnt(0)
	v_add_f64 v[21:22], v[21:22], v[32:33]
	buffer_load_dword v32, off, s[52:55], 0 offset:244 ; 4-byte Folded Reload
	buffer_load_dword v33, off, s[52:55], 0 offset:248 ; 4-byte Folded Reload
	v_add_f64 v[152:153], v[185:186], -v[213:214]
	v_add_f64 v[21:22], v[21:22], v[156:157]
	v_add_f64 v[152:153], v[152:153], v[166:167]
	;; [unrolled: 1-line block ×4, first 2 shown]
	s_waitcnt vmcnt(0)
	v_add_f64 v[32:33], v[144:145], v[32:33]
	v_add_f64 v[144:145], v[180:181], v[154:155]
	v_add_f64 v[154:155], v[187:188], -v[36:37]
	v_add_f64 v[32:33], v[32:33], v[48:49]
	buffer_load_dword v48, off, s[52:55], 0 offset:236 ; 4-byte Folded Reload
	buffer_load_dword v49, off, s[52:55], 0 offset:240 ; 4-byte Folded Reload
	;; [unrolled: 1-line block ×6, first 2 shown]
	v_add_f64 v[32:33], v[32:33], v[58:59]
	v_add_f64 v[58:59], v[229:230], -v[215:216]
	s_waitcnt vmcnt(2)
	v_add_f64 v[148:149], v[60:61], v[48:49]
	s_waitcnt vmcnt(0)
	v_add_f64 v[34:35], v[34:35], -v[56:57]
	buffer_load_dword v48, off, s[52:55], 0 offset:228 ; 4-byte Folded Reload
	buffer_load_dword v49, off, s[52:55], 0 offset:232 ; 4-byte Folded Reload
	;; [unrolled: 1-line block ×7, first 2 shown]
	v_add_f64 v[60:61], v[203:204], v[150:151]
	v_add_f64 v[42:43], v[42:43], v[148:149]
	v_add_f64 v[34:35], v[40:41], v[34:35]
	s_waitcnt vmcnt(3)
	v_add_f64 v[152:153], v[48:49], -v[56:57]
	s_waitcnt vmcnt(0)
	v_add_f64 v[36:37], v[38:39], v[36:37]
	buffer_load_dword v38, off, s[52:55], 0 offset:316 ; 4-byte Folded Reload
	buffer_load_dword v39, off, s[52:55], 0 offset:320 ; 4-byte Folded Reload
	;; [unrolled: 1-line block ×4, first 2 shown]
	v_add_f64 v[56:57], v[253:254], v[241:242]
	v_add_f64 v[40:41], v[40:41], v[152:153]
	;; [unrolled: 1-line block ×4, first 2 shown]
	s_waitcnt vmcnt(0)
	v_add_f64 v[38:39], v[38:39], -v[48:49]
	buffer_load_dword v48, off, s[52:55], 0 offset:388 ; 4-byte Folded Reload
	buffer_load_dword v49, off, s[52:55], 0 offset:392 ; 4-byte Folded Reload
	v_add_f64 v[34:35], v[38:39], v[34:35]
	v_add_f64 v[38:39], v[154:155], v[40:41]
	v_add_f64 v[40:41], v[178:179], -v[221:222]
	v_add_f64 v[26:27], v[26:27], v[38:39]
	v_add_f64 v[38:39], v[235:236], v[227:228]
	;; [unrolled: 1-line block ×3, first 2 shown]
	v_add_f64 v[40:41], v[197:198], -v[168:169]
	s_waitcnt vmcnt(0)
	v_add_f64 v[21:22], v[21:22], v[48:49]
	buffer_load_dword v48, off, s[52:55], 0 offset:300 ; 4-byte Folded Reload
	buffer_load_dword v49, off, s[52:55], 0 offset:304 ; 4-byte Folded Reload
	;; [unrolled: 1-line block ×4, first 2 shown]
	v_add_f64 v[21:22], v[21:22], v[62:63]
	v_add_f64 v[21:22], v[21:22], v[164:165]
	;; [unrolled: 1-line block ×6, first 2 shown]
	s_waitcnt vmcnt(2)
	v_add_f64 v[32:33], v[32:33], v[48:49]
	s_waitcnt vmcnt(0)
	v_add_f64 v[28:29], v[28:29], -v[42:43]
	buffer_load_dword v42, off, s[52:55], 0 offset:260 ; 4-byte Folded Reload
	buffer_load_dword v43, off, s[52:55], 0 offset:264 ; 4-byte Folded Reload
	v_add_f64 v[28:29], v[28:29], v[34:35]
	v_add_f64 v[34:35], v[223:224], -v[239:240]
	v_add_f64 v[28:29], v[58:59], v[28:29]
	v_add_f64 v[26:27], v[34:35], v[26:27]
	;; [unrolled: 1-line block ×5, first 2 shown]
	s_waitcnt vmcnt(0)
	v_add_f64 v[32:33], v[32:33], v[42:43]
	v_add_f64 v[42:43], v[217:218], v[189:190]
	;; [unrolled: 1-line block ×4, first 2 shown]
	v_add_f64 v[42:43], v[195:196], -v[233:234]
	v_add_f64 v[32:33], v[32:33], v[66:67]
	v_add_f64 v[36:37], v[38:39], v[36:37]
	;; [unrolled: 1-line block ×4, first 2 shown]
	buffer_load_dword v0, off, s[52:55], 0 offset:396 ; 4-byte Folded Reload
	buffer_load_dword v1, off, s[52:55], 0 offset:400 ; 4-byte Folded Reload
	v_add_f64 v[38:39], v[74:75], -v[251:252]
	v_add_f64 v[32:33], v[32:33], v[64:65]
	v_add_f64 v[56:57], v[56:57], v[36:37]
	;; [unrolled: 1-line block ×3, first 2 shown]
	s_waitcnt vmcnt(0)
	v_add_f64 v[58:59], v[32:33], v[0:1]
	buffer_load_dword v0, off, s[52:55], 0 offset:164 ; 4-byte Folded Reload
	buffer_load_dword v1, off, s[52:55], 0 offset:168 ; 4-byte Folded Reload
	s_waitcnt vmcnt(1)
	v_mul_u32_u24_e32 v0, 0x4e, v0
	s_waitcnt vmcnt(0)
	v_add_u32_e32 v0, v0, v1
	v_lshlrev_b32_e32 v1, 4, v187
	v_lshl_add_u32 v0, v0, 4, v1
	ds_write_b128 v0, v[58:61]
	ds_write_b128 v0, v[54:57] offset:96
	ds_write_b128 v0, v[50:53] offset:192
	;; [unrolled: 1-line block ×12, first 2 shown]
.LBB0_9:
	s_or_b64 exec, exec, s[34:35]
	v_lshlrev_b32_e32 v21, 6, v255
	s_waitcnt lgkmcnt(0)
	s_barrier
	global_load_dwordx4 v[52:55], v21, s[10:11] offset:1216
	global_load_dwordx4 v[48:51], v21, s[10:11] offset:1232
	global_load_dwordx4 v[44:47], v21, s[10:11] offset:1248
	global_load_dwordx4 v[40:43], v21, s[10:11] offset:1264
	ds_read_b128 v[0:3], v12
	ds_read_b128 v[4:7], v12 offset:1248
	ds_read_b128 v[8:11], v12 offset:2496
	;; [unrolled: 1-line block ×9, first 2 shown]
	v_mov_b32_e32 v22, s11
	v_add_co_u32_e64 v172, s[2:3], s10, v21
	v_addc_co_u32_e64 v173, s[2:3], 0, v22, s[2:3]
	s_mov_b32 s18, 0x134454ff
	s_mov_b32 s19, 0x3fee6f0e
	;; [unrolled: 1-line block ×10, first 2 shown]
	s_waitcnt vmcnt(0) lgkmcnt(0)
	s_barrier
	v_mul_f64 v[21:22], v[10:11], v[54:55]
	v_mul_f64 v[23:24], v[8:9], v[54:55]
	;; [unrolled: 1-line block ×12, first 2 shown]
	v_fma_f64 v[8:9], v[8:9], v[52:53], -v[21:22]
	v_fma_f64 v[10:11], v[10:11], v[52:53], v[23:24]
	v_fma_f64 v[17:18], v[17:18], v[48:49], -v[26:27]
	v_fma_f64 v[19:20], v[19:20], v[48:49], v[28:29]
	;; [unrolled: 2-line block ×3, first 2 shown]
	v_fma_f64 v[26:27], v[68:69], v[40:41], -v[34:35]
	v_mul_f64 v[148:149], v[56:57], v[50:51]
	v_mul_f64 v[152:153], v[64:65], v[46:47]
	;; [unrolled: 1-line block ×4, first 2 shown]
	v_fma_f64 v[28:29], v[70:71], v[40:41], v[36:37]
	v_fma_f64 v[30:31], v[13:14], v[52:53], -v[38:39]
	v_fma_f64 v[32:33], v[15:16], v[52:53], v[144:145]
	v_fma_f64 v[34:35], v[56:57], v[48:49], -v[146:147]
	v_fma_f64 v[38:39], v[64:65], v[44:45], -v[150:151]
	v_add_f64 v[13:14], v[0:1], v[8:9]
	v_add_f64 v[15:16], v[17:18], v[21:22]
	v_add_f64 v[60:61], v[8:9], -v[17:18]
	v_add_f64 v[68:69], v[26:27], -v[21:22]
	v_add_f64 v[144:145], v[2:3], v[10:11]
	v_add_f64 v[146:147], v[19:20], v[23:24]
	;; [unrolled: 1-line block ×3, first 2 shown]
	v_fma_f64 v[36:37], v[58:59], v[48:49], v[148:149]
	v_fma_f64 v[62:63], v[66:67], v[44:45], v[152:153]
	v_fma_f64 v[64:65], v[72:73], v[40:41], -v[154:155]
	v_fma_f64 v[66:67], v[74:75], v[40:41], v[156:157]
	v_add_f64 v[56:57], v[10:11], -v[28:29]
	v_add_f64 v[58:59], v[19:20], -v[23:24]
	;; [unrolled: 1-line block ×7, first 2 shown]
	v_add_f64 v[154:155], v[10:11], v[28:29]
	v_add_f64 v[10:11], v[19:20], -v[10:11]
	v_add_f64 v[156:157], v[23:24], -v[28:29]
	v_add_f64 v[158:159], v[4:5], v[30:31]
	v_add_f64 v[160:161], v[34:35], v[38:39]
	;; [unrolled: 1-line block ×3, first 2 shown]
	v_fma_f64 v[15:16], v[15:16], -0.5, v[0:1]
	v_add_f64 v[17:18], v[60:61], v[68:69]
	v_add_f64 v[19:20], v[144:145], v[19:20]
	v_fma_f64 v[68:69], v[146:147], -0.5, v[2:3]
	v_add_f64 v[152:153], v[28:29], -v[23:24]
	v_fma_f64 v[0:1], v[70:71], -0.5, v[0:1]
	v_add_f64 v[162:163], v[32:33], -v[66:67]
	v_add_f64 v[60:61], v[72:73], v[74:75]
	v_fma_f64 v[2:3], v[154:155], -0.5, v[2:3]
	v_add_f64 v[72:73], v[10:11], v[156:157]
	v_add_f64 v[10:11], v[158:159], v[34:35]
	v_fma_f64 v[74:75], v[160:161], -0.5, v[4:5]
	v_add_f64 v[13:14], v[13:14], v[21:22]
	v_fma_f64 v[21:22], v[56:57], s[18:19], v[15:16]
	v_fma_f64 v[15:16], v[56:57], s[20:21], v[15:16]
	v_add_f64 v[19:20], v[19:20], v[23:24]
	v_fma_f64 v[23:24], v[8:9], s[20:21], v[68:69]
	v_fma_f64 v[68:69], v[8:9], s[18:19], v[68:69]
	v_add_f64 v[70:71], v[150:151], v[152:153]
	v_fma_f64 v[150:151], v[58:59], s[18:19], v[0:1]
	v_add_f64 v[164:165], v[36:37], -v[62:63]
	v_add_f64 v[166:167], v[30:31], -v[34:35]
	;; [unrolled: 1-line block ×3, first 2 shown]
	v_fma_f64 v[146:147], v[58:59], s[20:21], v[0:1]
	v_fma_f64 v[152:153], v[148:149], s[18:19], v[2:3]
	;; [unrolled: 1-line block ×3, first 2 shown]
	v_add_f64 v[156:157], v[10:11], v[38:39]
	v_fma_f64 v[10:11], v[162:163], s[18:19], v[74:75]
	v_add_f64 v[0:1], v[13:14], v[26:27]
	v_fma_f64 v[13:14], v[58:59], s[14:15], v[21:22]
	v_fma_f64 v[15:16], v[58:59], s[10:11], v[15:16]
	v_add_f64 v[2:3], v[19:20], v[28:29]
	v_fma_f64 v[19:20], v[148:149], s[10:11], v[23:24]
	v_fma_f64 v[23:24], v[148:149], s[14:15], v[68:69]
	;; [unrolled: 1-line block ×3, first 2 shown]
	v_add_f64 v[144:145], v[166:167], v[168:169]
	v_fma_f64 v[21:22], v[56:57], s[14:15], v[146:147]
	v_fma_f64 v[28:29], v[8:9], s[10:11], v[152:153]
	;; [unrolled: 1-line block ×7, first 2 shown]
	v_add_f64 v[23:24], v[36:37], v[62:63]
	v_add_f64 v[170:171], v[30:31], v[64:65]
	v_fma_f64 v[10:11], v[70:71], s[16:17], v[19:20]
	v_add_f64 v[70:71], v[32:33], v[66:67]
	v_fma_f64 v[56:57], v[60:61], s[16:17], v[26:27]
	v_fma_f64 v[26:27], v[162:163], s[20:21], v[74:75]
	v_add_f64 v[74:75], v[6:7], v[32:33]
	v_fma_f64 v[17:18], v[60:61], s[16:17], v[21:22]
	v_fma_f64 v[19:20], v[72:73], s[16:17], v[28:29]
	;; [unrolled: 1-line block ×4, first 2 shown]
	v_add_f64 v[68:69], v[34:35], -v[30:31]
	v_add_f64 v[72:73], v[38:39], -v[64:65]
	v_fma_f64 v[23:24], v[23:24], -0.5, v[6:7]
	v_add_f64 v[30:31], v[30:31], -v[64:65]
	v_fma_f64 v[21:22], v[170:171], -0.5, v[4:5]
	;; [unrolled: 2-line block ×3, first 2 shown]
	v_add_f64 v[4:5], v[156:157], v[64:65]
	v_add_f64 v[64:65], v[74:75], v[36:37]
	;; [unrolled: 1-line block ×3, first 2 shown]
	v_add_f64 v[70:71], v[32:33], -v[36:37]
	v_fma_f64 v[68:69], v[30:31], s[20:21], v[23:24]
	v_add_f64 v[72:73], v[66:67], -v[62:63]
	v_fma_f64 v[28:29], v[164:165], s[20:21], v[21:22]
	v_fma_f64 v[23:24], v[30:31], s[18:19], v[23:24]
	;; [unrolled: 1-line block ×3, first 2 shown]
	v_add_f64 v[32:33], v[36:37], -v[32:33]
	v_add_f64 v[36:37], v[62:63], -v[66:67]
	v_fma_f64 v[21:22], v[164:165], s[18:19], v[21:22]
	v_fma_f64 v[6:7], v[34:35], s[20:21], v[6:7]
	v_add_f64 v[62:63], v[64:65], v[62:63]
	v_fma_f64 v[146:147], v[34:35], s[10:11], v[68:69]
	v_add_f64 v[70:71], v[70:71], v[72:73]
	v_fma_f64 v[28:29], v[162:163], s[14:15], v[28:29]
	v_fma_f64 v[23:24], v[34:35], s[14:15], v[23:24]
	v_fma_f64 v[34:35], v[30:31], s[10:11], v[74:75]
	v_add_f64 v[32:33], v[32:33], v[36:37]
	v_fma_f64 v[26:27], v[164:165], s[10:11], v[26:27]
	v_fma_f64 v[21:22], v[162:163], s[10:11], v[21:22]
	;; [unrolled: 4-line block ×3, first 2 shown]
	v_fma_f64 v[66:67], v[70:71], s[16:17], v[23:24]
	v_fma_f64 v[70:71], v[32:33], s[16:17], v[34:35]
	;; [unrolled: 1-line block ×5, first 2 shown]
	ds_write_b128 v12, v[0:3]
	ds_write_b128 v12, v[8:11] offset:1248
	ds_write_b128 v12, v[17:20] offset:2496
	;; [unrolled: 1-line block ×9, first 2 shown]
	v_mul_i32_i24_e32 v1, 0xffffffd0, v255
	v_mul_hi_i32_i24_e32 v0, 0xffffffd0, v255
	v_add_co_u32_e64 v2, s[2:3], v172, v1
	v_addc_co_u32_e64 v3, s[2:3], v173, v0, s[2:3]
	s_movk_i32 s2, 0x1000
	v_add_co_u32_e64 v0, s[2:3], s2, v2
	v_addc_co_u32_e64 v1, s[2:3], 0, v3, s[2:3]
	s_waitcnt lgkmcnt(0)
	s_barrier
	global_load_dwordx4 v[56:59], v[0:1], off offset:2112
	global_load_dwordx4 v[60:63], v[0:1], off offset:3360
	s_movk_i32 s2, 0x2000
	v_add_co_u32_e64 v0, s[2:3], s2, v2
	v_addc_co_u32_e64 v1, s[2:3], 0, v3, s[2:3]
	global_load_dwordx4 v[64:67], v[0:1], off offset:512
	global_load_dwordx4 v[68:71], v[0:1], off offset:1760
	;; [unrolled: 1-line block ×3, first 2 shown]
	v_lshlrev_b32_e32 v1, 4, v255
	v_mov_b32_e32 v2, s9
	v_add_co_u32_e64 v11, s[2:3], s8, v1
	v_addc_co_u32_e64 v33, s[2:3], 0, v2, s[2:3]
	ds_read_b128 v[1:4], v12 offset:6240
	ds_read_b128 v[5:8], v12
	ds_read_b128 v[13:16], v12 offset:1248
	ds_read_b128 v[17:20], v12 offset:7488
	ds_read_b128 v[144:147], v12 offset:8736
	ds_read_b128 v[148:151], v12 offset:4992
	v_lshl_add_u32 v0, v187, 4, v25
	ds_read_b128 v[152:155], v12 offset:2496
	ds_read_b128 v[156:159], v12 offset:3744
	;; [unrolled: 1-line block ×4, first 2 shown]
	s_movk_i32 s2, 0x30c0
	s_waitcnt vmcnt(4) lgkmcnt(9)
	v_mul_f64 v[9:10], v[3:4], v[58:59]
	v_mul_f64 v[21:22], v[1:2], v[58:59]
	s_waitcnt vmcnt(3) lgkmcnt(6)
	v_mul_f64 v[23:24], v[19:20], v[62:63]
	v_mul_f64 v[25:26], v[17:18], v[62:63]
	s_waitcnt vmcnt(0) lgkmcnt(0)
	v_mul_f64 v[27:28], v[166:167], v[74:75]
	v_fma_f64 v[1:2], v[1:2], v[56:57], -v[9:10]
	v_fma_f64 v[3:4], v[3:4], v[56:57], v[21:22]
	v_fma_f64 v[9:10], v[17:18], v[60:61], -v[23:24]
	v_mul_f64 v[17:18], v[146:147], v[66:67]
	v_mul_f64 v[21:22], v[144:145], v[66:67]
	v_fma_f64 v[19:20], v[19:20], v[60:61], v[25:26]
	v_mul_f64 v[23:24], v[162:163], v[70:71]
	v_mul_f64 v[25:26], v[160:161], v[70:71]
	;; [unrolled: 1-line block ×3, first 2 shown]
	v_add_f64 v[1:2], v[5:6], -v[1:2]
	v_add_f64 v[3:4], v[7:8], -v[3:4]
	v_fma_f64 v[31:32], v[144:145], v[64:65], -v[17:18]
	v_fma_f64 v[21:22], v[146:147], v[64:65], v[21:22]
	v_fma_f64 v[27:28], v[164:165], v[72:73], -v[27:28]
	v_fma_f64 v[23:24], v[160:161], v[68:69], -v[23:24]
	v_fma_f64 v[25:26], v[162:163], v[68:69], v[25:26]
	v_fma_f64 v[29:30], v[166:167], v[72:73], v[29:30]
	v_add_f64 v[17:18], v[13:14], -v[9:10]
	v_add_f64 v[19:20], v[15:16], -v[19:20]
	;; [unrolled: 1-line block ×4, first 2 shown]
	v_fma_f64 v[5:6], v[5:6], 2.0, -v[1:2]
	v_add_f64 v[160:161], v[156:157], -v[23:24]
	v_add_f64 v[162:163], v[158:159], -v[25:26]
	v_fma_f64 v[7:8], v[7:8], 2.0, -v[3:4]
	v_add_f64 v[164:165], v[148:149], -v[27:28]
	v_add_f64 v[166:167], v[150:151], -v[29:30]
	v_fma_f64 v[13:14], v[13:14], 2.0, -v[17:18]
	v_fma_f64 v[15:16], v[15:16], 2.0, -v[19:20]
	;; [unrolled: 1-line block ×4, first 2 shown]
	v_add_co_u32_e64 v9, s[2:3], s2, v11
	v_fma_f64 v[156:157], v[156:157], 2.0, -v[160:161]
	v_fma_f64 v[158:159], v[158:159], 2.0, -v[162:163]
	v_addc_co_u32_e64 v10, s[2:3], 0, v33, s[2:3]
	s_movk_i32 s2, 0x3000
	v_fma_f64 v[148:149], v[148:149], 2.0, -v[164:165]
	v_fma_f64 v[150:151], v[150:151], 2.0, -v[166:167]
	ds_write_b128 v12, v[5:8]
	ds_write_b128 v12, v[1:4] offset:6240
	ds_write_b128 v12, v[13:16] offset:1248
	;; [unrolled: 1-line block ×9, first 2 shown]
	v_add_co_u32_e64 v1, s[2:3], s2, v11
	v_addc_co_u32_e64 v2, s[2:3], 0, v33, s[2:3]
	s_waitcnt lgkmcnt(0)
	s_barrier
	global_load_dwordx4 v[1:4], v[1:2], off offset:192
	s_movk_i32 s2, 0x4000
	v_add_co_u32_e64 v21, s[2:3], s2, v11
	v_addc_co_u32_e64 v22, s[2:3], 0, v33, s[2:3]
	global_load_dwordx4 v[5:8], v[21:22], off offset:2336
	global_load_dwordx4 v[13:16], v[21:22], off offset:3584
	;; [unrolled: 1-line block ×4, first 2 shown]
	s_movk_i32 s2, 0x5000
	v_add_co_u32_e64 v23, s[2:3], s2, v11
	v_addc_co_u32_e64 v24, s[2:3], 0, v33, s[2:3]
	global_load_dwordx4 v[148:151], v[23:24], off offset:736
	global_load_dwordx4 v[152:155], v[9:10], off offset:3744
	;; [unrolled: 1-line block ×5, first 2 shown]
	ds_read_b128 v[168:171], v12 offset:6240
	ds_read_b128 v[172:175], v12
	ds_read_b128 v[176:179], v12 offset:1248
	ds_read_b128 v[180:183], v12 offset:7488
	;; [unrolled: 1-line block ×6, first 2 shown]
	s_waitcnt vmcnt(9) lgkmcnt(6)
	v_mul_f64 v[9:10], v[174:175], v[3:4]
	v_mul_f64 v[3:4], v[172:173], v[3:4]
	s_waitcnt vmcnt(8)
	v_mul_f64 v[21:22], v[170:171], v[7:8]
	v_mul_f64 v[23:24], v[168:169], v[7:8]
	s_waitcnt vmcnt(7) lgkmcnt(4)
	v_mul_f64 v[27:28], v[182:183], v[15:16]
	s_waitcnt vmcnt(5) lgkmcnt(2)
	v_mul_f64 v[31:32], v[191:192], v[146:147]
	v_mul_f64 v[33:34], v[189:190], v[146:147]
	v_fma_f64 v[7:8], v[172:173], v[1:2], -v[9:10]
	v_fma_f64 v[9:10], v[174:175], v[1:2], v[3:4]
	v_mul_f64 v[29:30], v[180:181], v[15:16]
	v_fma_f64 v[1:2], v[168:169], v[5:6], -v[21:22]
	v_fma_f64 v[3:4], v[170:171], v[5:6], v[23:24]
	v_mul_f64 v[25:26], v[178:179], v[19:20]
	v_mul_f64 v[19:20], v[176:177], v[19:20]
	ds_write_b128 v12, v[7:10]
	ds_write_b128 v12, v[1:4] offset:6240
	ds_read_b128 v[5:8], v12 offset:9984
	v_fma_f64 v[172:173], v[189:190], v[144:145], -v[31:32]
	v_fma_f64 v[174:175], v[191:192], v[144:145], v[33:34]
	ds_read_b128 v[144:147], v12 offset:11232
	s_waitcnt vmcnt(4)
	v_mul_f64 v[35:36], v[187:188], v[150:151]
	v_mul_f64 v[37:38], v[185:186], v[150:151]
	v_fma_f64 v[168:169], v[180:181], v[13:14], -v[27:28]
	v_fma_f64 v[170:171], v[182:183], v[13:14], v[29:30]
	s_waitcnt vmcnt(3) lgkmcnt(5)
	v_mul_f64 v[9:10], v[195:196], v[154:155]
	v_mul_f64 v[13:14], v[193:194], v[154:155]
	v_fma_f64 v[15:16], v[176:177], v[17:18], -v[25:26]
	v_fma_f64 v[17:18], v[178:179], v[17:18], v[19:20]
	s_waitcnt vmcnt(2) lgkmcnt(1)
	v_mul_f64 v[19:20], v[7:8], v[158:159]
	v_mul_f64 v[21:22], v[5:6], v[158:159]
	s_waitcnt vmcnt(1)
	v_mul_f64 v[23:24], v[199:200], v[162:163]
	v_mul_f64 v[25:26], v[197:198], v[162:163]
	s_waitcnt vmcnt(0) lgkmcnt(0)
	v_mul_f64 v[27:28], v[146:147], v[166:167]
	v_mul_f64 v[29:30], v[144:145], v[166:167]
	v_fma_f64 v[1:2], v[185:186], v[148:149], -v[35:36]
	v_fma_f64 v[3:4], v[187:188], v[148:149], v[37:38]
	v_fma_f64 v[148:149], v[193:194], v[152:153], -v[9:10]
	v_fma_f64 v[150:151], v[195:196], v[152:153], v[13:14]
	;; [unrolled: 2-line block ×5, first 2 shown]
	ds_write_b128 v12, v[15:18] offset:1248
	ds_write_b128 v12, v[168:171] offset:7488
	;; [unrolled: 1-line block ×8, first 2 shown]
	s_waitcnt lgkmcnt(0)
	s_barrier
	ds_read_b128 v[1:4], v12 offset:6240
	ds_read_b128 v[5:8], v12
	ds_read_b128 v[13:16], v12 offset:1248
	ds_read_b128 v[17:20], v12 offset:4992
	;; [unrolled: 1-line block ×8, first 2 shown]
	s_waitcnt lgkmcnt(0)
	s_barrier
	buffer_load_dword v9, off, s[52:55], 0 offset:180 ; 4-byte Folded Reload
	v_add_f64 v[1:2], v[5:6], -v[1:2]
	v_add_f64 v[3:4], v[7:8], -v[3:4]
	;; [unrolled: 1-line block ×8, first 2 shown]
	v_fma_f64 v[5:6], v[5:6], 2.0, -v[1:2]
	v_fma_f64 v[7:8], v[7:8], 2.0, -v[3:4]
	s_waitcnt vmcnt(0)
	ds_write_b128 v9, v[5:8]
	ds_write_b128 v9, v[1:4] offset:16
	buffer_load_dword v1, off, s[52:55], 0 offset:184 ; 4-byte Folded Reload
	v_fma_f64 v[13:14], v[13:14], 2.0, -v[144:145]
	v_fma_f64 v[15:16], v[15:16], 2.0, -v[146:147]
	s_waitcnt vmcnt(0)
	ds_write_b128 v1, v[13:16]
	ds_write_b128 v1, v[144:147] offset:16
	buffer_load_dword v1, off, s[52:55], 0 offset:188 ; 4-byte Folded Reload
	;; [unrolled: 6-line block ×4, first 2 shown]
	v_add_f64 v[148:149], v[17:18], -v[164:165]
	v_add_f64 v[150:151], v[19:20], -v[166:167]
	v_fma_f64 v[17:18], v[17:18], 2.0, -v[148:149]
	v_fma_f64 v[19:20], v[19:20], 2.0, -v[150:151]
	s_waitcnt vmcnt(0)
	ds_write_b128 v1, v[17:20]
	ds_write_b128 v1, v[148:151] offset:16
	s_waitcnt lgkmcnt(0)
	s_barrier
	ds_read_b128 v[156:159], v12
	ds_read_b128 v[144:147], v12 offset:1248
	ds_read_b128 v[172:175], v12 offset:8320
	;; [unrolled: 1-line block ×8, first 2 shown]
	s_and_saveexec_b64 s[2:3], vcc
	s_cbranch_execz .LBB0_11
; %bb.10:
	ds_read_b128 v[148:151], v12 offset:3744
	ds_read_b128 v[140:143], v12 offset:7904
	;; [unrolled: 1-line block ×3, first 2 shown]
.LBB0_11:
	s_or_b64 exec, exec, s[2:3]
	s_waitcnt lgkmcnt(4)
	v_mul_f64 v[1:2], v[102:103], v[182:183]
	v_mul_f64 v[3:4], v[102:103], v[180:181]
	;; [unrolled: 1-line block ×4, first 2 shown]
	s_waitcnt lgkmcnt(2)
	v_mul_f64 v[9:10], v[102:103], v[178:179]
	v_mul_f64 v[13:14], v[102:103], v[176:177]
	;; [unrolled: 1-line block ×3, first 2 shown]
	s_waitcnt lgkmcnt(1)
	v_mul_f64 v[19:20], v[102:103], v[170:171]
	v_fma_f64 v[1:2], v[100:101], v[180:181], v[1:2]
	v_fma_f64 v[3:4], v[100:101], v[182:183], -v[3:4]
	v_fma_f64 v[5:6], v[96:97], v[172:173], v[5:6]
	v_fma_f64 v[7:8], v[96:97], v[174:175], -v[7:8]
	v_mul_f64 v[21:22], v[102:103], v[168:169]
	v_mul_f64 v[27:28], v[102:103], v[142:143]
	;; [unrolled: 1-line block ×3, first 2 shown]
	s_waitcnt lgkmcnt(0)
	v_mul_f64 v[35:36], v[98:99], v[136:137]
	v_mul_f64 v[15:16], v[98:99], v[166:167]
	v_fma_f64 v[13:14], v[100:101], v[178:179], -v[13:14]
	v_add_f64 v[31:32], v[1:2], v[5:6]
	v_add_f64 v[102:103], v[3:4], v[7:8]
	v_mul_f64 v[23:24], v[98:99], v[162:163]
	v_fma_f64 v[17:18], v[96:97], v[166:167], -v[17:18]
	v_mul_f64 v[25:26], v[98:99], v[160:161]
	v_mul_f64 v[33:34], v[98:99], v[138:139]
	v_add_f64 v[37:38], v[156:157], v[1:2]
	v_add_f64 v[98:99], v[3:4], -v[7:8]
	v_fma_f64 v[31:32], v[31:32], -0.5, v[156:157]
	v_fma_f64 v[35:36], v[96:97], v[138:139], -v[35:36]
	v_add_f64 v[3:4], v[158:159], v[3:4]
	v_fma_f64 v[138:139], v[102:103], -0.5, v[158:159]
	v_add_f64 v[1:2], v[1:2], -v[5:6]
	s_mov_b32 s2, 0xe8584caa
	s_mov_b32 s3, 0xbfebb67a
	;; [unrolled: 1-line block ×4, first 2 shown]
	v_fma_f64 v[9:10], v[100:101], v[176:177], v[9:10]
	v_fma_f64 v[15:16], v[96:97], v[164:165], v[15:16]
	v_fma_f64 v[19:20], v[100:101], v[168:169], v[19:20]
	v_fma_f64 v[21:22], v[100:101], v[170:171], -v[21:22]
	v_fma_f64 v[25:26], v[96:97], v[162:163], -v[25:26]
	v_fma_f64 v[27:28], v[100:101], v[140:141], v[27:28]
	v_fma_f64 v[29:30], v[100:101], v[142:143], -v[29:30]
	v_fma_f64 v[33:34], v[96:97], v[136:137], v[33:34]
	v_fma_f64 v[100:101], v[98:99], s[2:3], v[31:32]
	;; [unrolled: 1-line block ×3, first 2 shown]
	v_add_f64 v[98:99], v[3:4], v[7:8]
	v_add_f64 v[3:4], v[13:14], v[17:18]
	v_fma_f64 v[102:103], v[1:2], s[8:9], v[138:139]
	v_fma_f64 v[138:139], v[1:2], s[2:3], v[138:139]
	v_add_f64 v[1:2], v[146:147], v[13:14]
	v_fma_f64 v[23:24], v[96:97], v[160:161], v[23:24]
	v_add_f64 v[96:97], v[37:38], v[5:6]
	v_add_f64 v[37:38], v[9:10], v[15:16]
	;; [unrolled: 1-line block ×3, first 2 shown]
	v_fma_f64 v[3:4], v[3:4], -0.5, v[146:147]
	v_add_f64 v[9:10], v[9:10], -v[15:16]
	v_add_f64 v[142:143], v[1:2], v[17:18]
	v_add_f64 v[1:2], v[21:22], v[25:26]
	s_barrier
	v_fma_f64 v[7:8], v[37:38], -0.5, v[144:145]
	v_add_f64 v[31:32], v[13:14], -v[17:18]
	v_fma_f64 v[146:147], v[9:10], s[8:9], v[3:4]
	v_fma_f64 v[158:159], v[9:10], s[2:3], v[3:4]
	v_add_f64 v[9:10], v[19:20], -v[23:24]
	v_fma_f64 v[1:2], v[1:2], -0.5, v[154:155]
	v_add_f64 v[140:141], v[5:6], v[15:16]
	v_add_f64 v[37:38], v[19:20], v[23:24]
	;; [unrolled: 1-line block ×3, first 2 shown]
	v_fma_f64 v[144:145], v[31:32], s[2:3], v[7:8]
	v_fma_f64 v[156:157], v[31:32], s[8:9], v[7:8]
	v_add_f64 v[15:16], v[21:22], -v[25:26]
	v_add_f64 v[3:4], v[27:28], v[33:34]
	v_fma_f64 v[174:175], v[9:10], s[8:9], v[1:2]
	v_fma_f64 v[166:167], v[9:10], s[2:3], v[1:2]
	buffer_load_dword v1, off, s[52:55], 0 offset:196 ; 4-byte Folded Reload
	v_fma_f64 v[13:14], v[37:38], -0.5, v[152:153]
	v_add_f64 v[168:169], v[5:6], v[23:24]
	v_add_f64 v[5:6], v[29:30], v[35:36]
	v_add_f64 v[7:8], v[154:155], v[21:22]
	v_fma_f64 v[3:4], v[3:4], -0.5, v[148:149]
	v_add_f64 v[17:18], v[150:151], v[29:30]
	v_add_f64 v[19:20], v[27:28], -v[33:34]
	s_waitcnt vmcnt(0)
	ds_write_b128 v1, v[96:99]
	ds_write_b128 v1, v[100:103] offset:32
	ds_write_b128 v1, v[136:139] offset:64
	buffer_load_dword v1, off, s[52:55], 0 offset:176 ; 4-byte Folded Reload
	v_fma_f64 v[172:173], v[15:16], s[2:3], v[13:14]
	v_fma_f64 v[164:165], v[15:16], s[8:9], v[13:14]
	v_add_f64 v[13:14], v[148:149], v[27:28]
	v_add_f64 v[15:16], v[29:30], -v[35:36]
	v_fma_f64 v[5:6], v[5:6], -0.5, v[150:151]
	v_add_f64 v[170:171], v[7:8], v[25:26]
	v_add_f64 v[162:163], v[17:18], v[35:36]
	s_waitcnt vmcnt(0)
	ds_write_b128 v1, v[140:143]
	ds_write_b128 v1, v[144:147] offset:32
	ds_write_b128 v1, v[156:159] offset:64
	buffer_load_dword v1, off, s[52:55], 0 offset:172 ; 4-byte Folded Reload
	v_add_f64 v[160:161], v[13:14], v[33:34]
	v_fma_f64 v[152:153], v[15:16], s[2:3], v[3:4]
	v_fma_f64 v[148:149], v[15:16], s[8:9], v[3:4]
	;; [unrolled: 1-line block ×4, first 2 shown]
	s_waitcnt vmcnt(0)
	ds_write_b128 v1, v[168:171]
	ds_write_b128 v1, v[172:175] offset:32
	ds_write_b128 v1, v[164:167] offset:64
	s_and_saveexec_b64 s[2:3], vcc
	s_cbranch_execz .LBB0_13
; %bb.12:
	buffer_load_dword v1, off, s[52:55], 0 offset:200 ; 4-byte Folded Reload
	v_and_b32_e32 v2, 1, v255
	s_waitcnt vmcnt(0)
	v_mul_u32_u24_e32 v1, 6, v1
	v_or_b32_e32 v1, v1, v2
	buffer_load_dword v2, off, s[52:55], 0 offset:160 ; 4-byte Folded Reload
	s_waitcnt vmcnt(0)
	v_lshl_add_u32 v1, v1, 4, v2
	ds_write_b128 v1, v[160:163]
	ds_write_b128 v1, v[152:155] offset:32
	ds_write_b128 v1, v[148:151] offset:64
.LBB0_13:
	s_or_b64 exec, exec, s[2:3]
	s_waitcnt lgkmcnt(0)
	s_barrier
	s_and_saveexec_b64 s[2:3], s[0:1]
	s_cbranch_execz .LBB0_15
; %bb.14:
	ds_read_b128 v[96:99], v12
	ds_read_b128 v[100:103], v12 offset:960
	ds_read_b128 v[136:139], v12 offset:1920
	;; [unrolled: 1-line block ×12, first 2 shown]
.LBB0_15:
	s_or_b64 exec, exec, s[2:3]
	v_add_u32_e32 v2, 0x9c0, v0
	v_add_u32_e32 v1, 0xea0, v0
	;; [unrolled: 1-line block ×3, first 2 shown]
	s_waitcnt lgkmcnt(0)
	s_barrier
	s_and_saveexec_b64 s[2:3], s[0:1]
	s_cbranch_execz .LBB0_17
; %bb.16:
	v_mul_f64 v[3:4], v[122:123], v[170:171]
	v_mul_f64 v[5:6], v[122:123], v[168:169]
	;; [unrolled: 1-line block ×8, first 2 shown]
	v_fma_f64 v[178:179], v[120:121], v[168:169], v[3:4]
	v_mul_f64 v[3:4], v[118:119], v[174:175]
	v_fma_f64 v[122:123], v[120:121], v[170:171], -v[5:6]
	v_mul_f64 v[5:6], v[118:119], v[172:173]
	v_fma_f64 v[118:119], v[124:125], v[156:157], v[7:8]
	v_fma_f64 v[156:157], v[92:93], v[144:145], v[13:14]
	v_mul_f64 v[13:14], v[130:131], v[162:163]
	v_fma_f64 v[146:147], v[92:93], v[146:147], -v[15:16]
	v_mul_f64 v[15:16], v[130:131], v[160:161]
	v_fma_f64 v[130:131], v[88:89], v[140:141], v[17:18]
	v_mul_f64 v[19:20], v[90:91], v[140:141]
	v_fma_f64 v[140:141], v[80:81], v[136:137], v[21:22]
	v_mul_f64 v[21:22], v[106:107], v[150:151]
	v_mul_f64 v[23:24], v[82:83], v[136:137]
	;; [unrolled: 1-line block ×3, first 2 shown]
	v_fma_f64 v[158:159], v[124:125], v[158:159], -v[9:10]
	v_mul_f64 v[27:28], v[78:79], v[100:101]
	v_fma_f64 v[120:121], v[128:129], v[160:161], v[13:14]
	v_fma_f64 v[144:145], v[128:129], v[162:163], -v[15:16]
	v_mul_f64 v[17:18], v[110:111], v[154:155]
	v_fma_f64 v[124:125], v[104:105], v[148:149], v[21:22]
	;; [unrolled: 3-line block ×3, first 2 shown]
	v_mul_f64 v[25:26], v[86:87], v[134:135]
	s_mov_b32 s26, 0x4bc48dbf
	s_mov_b32 s27, 0xbfcea1e5
	v_fma_f64 v[126:127], v[108:109], v[152:153], v[17:18]
	v_fma_f64 v[160:161], v[88:89], v[142:143], -v[19:20]
	v_mul_f64 v[19:20], v[110:111], v[152:153]
	v_fma_f64 v[136:137], v[104:105], v[150:151], -v[23:24]
	v_fma_f64 v[150:151], v[76:77], v[102:103], -v[27:28]
	v_fma_f64 v[128:129], v[84:85], v[132:133], v[25:26]
	v_mul_f64 v[27:28], v[86:87], v[132:133]
	v_add_f64 v[185:186], v[140:141], -v[124:125]
	s_mov_b32 s28, 0x93053d00
	s_mov_b32 s23, 0x3fddbe06
	;; [unrolled: 1-line block ×4, first 2 shown]
	v_mul_f64 v[7:8], v[114:115], v[166:167]
	v_add_f64 v[187:188], v[148:149], -v[128:129]
	v_fma_f64 v[132:133], v[84:85], v[134:135], -v[27:28]
	v_add_f64 v[182:183], v[130:131], -v[126:127]
	v_fma_f64 v[142:143], v[108:109], v[154:155], -v[19:20]
	v_mul_f64 v[21:22], v[185:186], s[22:23]
	v_add_f64 v[154:155], v[138:139], v[136:137]
	s_mov_b32 s20, 0x24c2f84
	s_mov_b32 s18, 0xe00740e9
	v_mul_f64 v[25:26], v[187:188], s[26:27]
	v_add_f64 v[134:135], v[150:151], v[132:133]
	v_add_f64 v[211:212], v[150:151], -v[132:133]
	s_mov_b32 s21, 0xbfe5384d
	s_mov_b32 s19, 0x3fec55a7
	v_fma_f64 v[176:177], v[116:117], v[172:173], v[3:4]
	v_fma_f64 v[168:169], v[116:117], v[174:175], -v[5:6]
	v_fma_f64 v[116:117], v[112:113], v[164:165], v[7:8]
	v_mul_f64 v[9:10], v[114:115], v[164:165]
	v_fma_f64 v[27:28], v[134:135], s[28:29], v[25:26]
	v_add_f64 v[174:175], v[156:157], -v[120:121]
	v_mul_f64 v[17:18], v[182:183], s[20:21]
	v_add_f64 v[152:153], v[160:161], v[142:143]
	v_fma_f64 v[23:24], v[154:155], s[18:19], v[21:22]
	v_add_f64 v[209:210], v[138:139], -v[136:137]
	v_add_f64 v[199:200], v[148:149], v[128:129]
	v_mul_f64 v[37:38], v[211:212], s[26:27]
	v_add_f64 v[27:28], v[98:99], v[27:28]
	s_mov_b32 s36, 0x42a4c3d2
	s_mov_b32 s16, 0xd0032e0c
	;; [unrolled: 1-line block ×4, first 2 shown]
	v_add_f64 v[172:173], v[118:119], -v[116:117]
	v_fma_f64 v[164:165], v[112:113], v[166:167], -v[9:10]
	v_mul_f64 v[13:14], v[174:175], s[36:37]
	v_add_f64 v[162:163], v[146:147], v[144:145]
	v_fma_f64 v[19:20], v[152:153], s[16:17], v[17:18]
	v_add_f64 v[23:24], v[23:24], v[27:28]
	v_add_f64 v[207:208], v[160:161], -v[142:143]
	v_add_f64 v[197:198], v[140:141], v[124:125]
	v_mul_f64 v[33:34], v[209:210], s[22:23]
	v_fma_f64 v[76:77], v[199:200], s[28:29], -v[37:38]
	s_mov_b32 s8, 0x2ef20147
	s_mov_b32 s14, 0x1ea71119
	;; [unrolled: 1-line block ×4, first 2 shown]
	v_add_f64 v[180:181], v[178:179], -v[176:177]
	v_mul_f64 v[7:8], v[172:173], s[8:9]
	v_add_f64 v[166:167], v[158:159], v[164:165]
	v_fma_f64 v[15:16], v[162:163], s[14:15], v[13:14]
	v_add_f64 v[19:20], v[19:20], v[23:24]
	v_add_f64 v[205:206], v[146:147], -v[144:145]
	v_add_f64 v[195:196], v[130:131], v[126:127]
	v_mul_f64 v[29:30], v[207:208], s[20:21]
	v_fma_f64 v[35:36], v[197:198], s[18:19], -v[33:34]
	v_add_f64 v[76:77], v[96:97], v[76:77]
	s_mov_b32 s24, 0x66966769
	s_mov_b32 s10, 0xb2365da1
	;; [unrolled: 1-line block ×4, first 2 shown]
	v_mul_f64 v[3:4], v[180:181], s[24:25]
	v_add_f64 v[170:171], v[122:123], v[168:169]
	v_fma_f64 v[9:10], v[166:167], s[10:11], v[7:8]
	v_add_f64 v[15:16], v[15:16], v[19:20]
	v_add_f64 v[203:204], v[158:159], -v[164:165]
	v_add_f64 v[193:194], v[156:157], v[120:121]
	v_mul_f64 v[23:24], v[205:206], s[36:37]
	v_fma_f64 v[31:32], v[195:196], s[16:17], -v[29:30]
	v_add_f64 v[35:36], v[35:36], v[76:77]
	s_mov_b32 s0, 0xebaa3ed8
	s_mov_b32 s1, 0x3fbedb7d
	v_fma_f64 v[5:6], v[170:171], s[0:1], v[3:4]
	v_add_f64 v[9:10], v[9:10], v[15:16]
	v_add_f64 v[201:202], v[122:123], -v[168:169]
	v_add_f64 v[191:192], v[118:119], v[116:117]
	v_mul_f64 v[15:16], v[203:204], s[8:9]
	v_fma_f64 v[27:28], v[193:194], s[14:15], -v[23:24]
	v_add_f64 v[31:32], v[31:32], v[35:36]
	v_add_f64 v[189:190], v[178:179], v[176:177]
	v_fma_f64 v[7:8], v[166:167], s[10:11], -v[7:8]
	v_add_f64 v[78:79], v[5:6], v[9:10]
	v_mul_f64 v[5:6], v[201:202], s[24:25]
	v_fma_f64 v[3:4], v[170:171], s[0:1], -v[3:4]
	v_fma_f64 v[19:20], v[191:192], s[10:11], -v[15:16]
	s_mov_b32 s31, 0xbfea55e2
	v_add_f64 v[27:28], v[27:28], v[31:32]
	s_mov_b32 s30, s36
	s_mov_b32 s41, 0x3fcea1e5
	;; [unrolled: 1-line block ×3, first 2 shown]
	v_fma_f64 v[9:10], v[189:190], s[0:1], -v[5:6]
	s_mov_b32 s39, 0x3fe5384d
	s_mov_b32 s38, s20
	;; [unrolled: 1-line block ×3, first 2 shown]
	v_add_f64 v[19:20], v[19:20], v[27:28]
	s_mov_b32 s34, s24
	buffer_load_dword v11, off, s[52:55], 0 offset:164 ; 4-byte Folded Reload
	v_add_f64 v[76:77], v[9:10], v[19:20]
	v_fma_f64 v[19:20], v[134:135], s[28:29], -v[25:26]
	v_fma_f64 v[9:10], v[162:163], s[14:15], -v[13:14]
	;; [unrolled: 1-line block ×4, first 2 shown]
	v_mul_f64 v[25:26], v[187:188], s[20:21]
	v_mul_f64 v[21:22], v[185:186], s[24:25]
	v_add_f64 v[19:20], v[98:99], v[19:20]
	v_fma_f64 v[27:28], v[134:135], s[16:17], v[25:26]
	v_add_f64 v[17:18], v[17:18], v[19:20]
	v_add_f64 v[27:28], v[98:99], v[27:28]
	;; [unrolled: 1-line block ×3, first 2 shown]
	v_mul_f64 v[17:18], v[182:183], s[30:31]
	v_add_f64 v[9:10], v[9:10], v[13:14]
	v_fma_f64 v[13:14], v[197:198], s[18:19], v[33:34]
	v_fma_f64 v[19:20], v[152:153], s[14:15], v[17:18]
	v_mul_f64 v[33:34], v[209:210], s[24:25]
	v_add_f64 v[7:8], v[7:8], v[9:10]
	v_fma_f64 v[9:10], v[195:196], s[16:17], v[29:30]
	v_mul_f64 v[29:30], v[207:208], s[30:31]
	v_fma_f64 v[35:36], v[197:198], s[0:1], -v[33:34]
	v_add_f64 v[82:83], v[3:4], v[7:8]
	v_fma_f64 v[3:4], v[189:190], s[0:1], v[5:6]
	v_fma_f64 v[5:6], v[191:192], s[10:11], v[15:16]
	;; [unrolled: 1-line block ×5, first 2 shown]
	v_mul_f64 v[37:38], v[211:212], s[20:21]
	v_fma_f64 v[31:32], v[195:196], s[14:15], -v[29:30]
	v_add_f64 v[15:16], v[96:97], v[15:16]
	v_add_f64 v[23:24], v[23:24], v[27:28]
	v_fma_f64 v[84:85], v[199:200], s[16:17], -v[37:38]
	v_add_f64 v[13:14], v[13:14], v[15:16]
	v_add_f64 v[19:20], v[19:20], v[23:24]
	;; [unrolled: 1-line block ×3, first 2 shown]
	v_mul_f64 v[23:24], v[205:206], s[40:41]
	v_add_f64 v[9:10], v[9:10], v[13:14]
	v_mul_f64 v[13:14], v[174:175], s[40:41]
	v_add_f64 v[35:36], v[35:36], v[84:85]
	v_fma_f64 v[27:28], v[193:194], s[28:29], -v[23:24]
	v_add_f64 v[7:8], v[7:8], v[9:10]
	v_fma_f64 v[15:16], v[162:163], s[28:29], v[13:14]
	v_add_f64 v[31:32], v[31:32], v[35:36]
	v_add_f64 v[5:6], v[5:6], v[7:8]
	v_mul_f64 v[7:8], v[172:173], s[22:23]
	v_add_f64 v[15:16], v[15:16], v[19:20]
	v_add_f64 v[27:28], v[27:28], v[31:32]
	;; [unrolled: 1-line block ×3, first 2 shown]
	v_mul_f64 v[3:4], v[180:181], s[8:9]
	v_fma_f64 v[9:10], v[166:167], s[18:19], v[7:8]
	v_fma_f64 v[7:8], v[166:167], s[18:19], -v[7:8]
	v_fma_f64 v[5:6], v[170:171], s[10:11], v[3:4]
	v_add_f64 v[9:10], v[9:10], v[15:16]
	v_mul_f64 v[15:16], v[203:204], s[22:23]
	v_fma_f64 v[3:4], v[170:171], s[10:11], -v[3:4]
	v_add_f64 v[86:87], v[5:6], v[9:10]
	v_mul_f64 v[5:6], v[201:202], s[8:9]
	v_fma_f64 v[19:20], v[191:192], s[18:19], -v[15:16]
	v_fma_f64 v[9:10], v[189:190], s[10:11], -v[5:6]
	v_add_f64 v[19:20], v[19:20], v[27:28]
	v_add_f64 v[84:85], v[9:10], v[19:20]
	v_fma_f64 v[19:20], v[134:135], s[16:17], -v[25:26]
	v_fma_f64 v[9:10], v[162:163], s[28:29], -v[13:14]
	;; [unrolled: 1-line block ×4, first 2 shown]
	v_mul_f64 v[25:26], v[187:188], s[8:9]
	v_mul_f64 v[21:22], v[185:186], s[38:39]
	v_add_f64 v[19:20], v[98:99], v[19:20]
	v_fma_f64 v[27:28], v[134:135], s[10:11], v[25:26]
	v_add_f64 v[17:18], v[17:18], v[19:20]
	v_add_f64 v[27:28], v[98:99], v[27:28]
	;; [unrolled: 1-line block ×3, first 2 shown]
	v_mul_f64 v[17:18], v[182:183], s[22:23]
	v_add_f64 v[9:10], v[9:10], v[13:14]
	v_fma_f64 v[13:14], v[197:198], s[0:1], v[33:34]
	v_fma_f64 v[19:20], v[152:153], s[18:19], v[17:18]
	v_mul_f64 v[33:34], v[209:210], s[38:39]
	v_add_f64 v[7:8], v[7:8], v[9:10]
	v_fma_f64 v[9:10], v[195:196], s[14:15], v[29:30]
	v_mul_f64 v[29:30], v[207:208], s[22:23]
	v_fma_f64 v[35:36], v[197:198], s[16:17], -v[33:34]
	v_add_f64 v[90:91], v[3:4], v[7:8]
	v_fma_f64 v[3:4], v[189:190], s[10:11], v[5:6]
	v_fma_f64 v[5:6], v[191:192], s[18:19], v[15:16]
	;; [unrolled: 1-line block ×5, first 2 shown]
	v_mul_f64 v[37:38], v[211:212], s[8:9]
	v_fma_f64 v[31:32], v[195:196], s[18:19], -v[29:30]
	v_add_f64 v[15:16], v[96:97], v[15:16]
	v_add_f64 v[23:24], v[23:24], v[27:28]
	v_fma_f64 v[92:93], v[199:200], s[10:11], -v[37:38]
	v_add_f64 v[13:14], v[13:14], v[15:16]
	v_add_f64 v[19:20], v[19:20], v[23:24]
	;; [unrolled: 1-line block ×3, first 2 shown]
	v_mul_f64 v[23:24], v[205:206], s[34:35]
	v_add_f64 v[9:10], v[9:10], v[13:14]
	v_mul_f64 v[13:14], v[174:175], s[34:35]
	v_add_f64 v[35:36], v[35:36], v[92:93]
	v_fma_f64 v[27:28], v[193:194], s[0:1], -v[23:24]
	v_add_f64 v[7:8], v[7:8], v[9:10]
	v_fma_f64 v[15:16], v[162:163], s[0:1], v[13:14]
	v_add_f64 v[31:32], v[31:32], v[35:36]
	v_add_f64 v[5:6], v[5:6], v[7:8]
	v_mul_f64 v[7:8], v[172:173], s[40:41]
	v_add_f64 v[15:16], v[15:16], v[19:20]
	v_add_f64 v[27:28], v[27:28], v[31:32]
	;; [unrolled: 1-line block ×3, first 2 shown]
	v_mul_f64 v[3:4], v[180:181], s[36:37]
	v_fma_f64 v[9:10], v[166:167], s[28:29], v[7:8]
	v_fma_f64 v[7:8], v[166:167], s[28:29], -v[7:8]
	v_fma_f64 v[5:6], v[170:171], s[14:15], v[3:4]
	v_add_f64 v[9:10], v[9:10], v[15:16]
	v_mul_f64 v[15:16], v[203:204], s[40:41]
	v_fma_f64 v[3:4], v[170:171], s[14:15], -v[3:4]
	v_add_f64 v[94:95], v[5:6], v[9:10]
	v_mul_f64 v[5:6], v[201:202], s[36:37]
	v_fma_f64 v[19:20], v[191:192], s[28:29], -v[15:16]
	s_mov_b32 s37, 0x3fedeba7
	s_mov_b32 s36, s8
	v_fma_f64 v[9:10], v[189:190], s[14:15], -v[5:6]
	v_add_f64 v[19:20], v[19:20], v[27:28]
	v_add_f64 v[92:93], v[9:10], v[19:20]
	v_fma_f64 v[19:20], v[134:135], s[10:11], -v[25:26]
	v_fma_f64 v[9:10], v[162:163], s[0:1], -v[13:14]
	;; [unrolled: 1-line block ×4, first 2 shown]
	v_mul_f64 v[25:26], v[187:188], s[34:35]
	v_mul_f64 v[21:22], v[185:186], s[26:27]
	v_add_f64 v[19:20], v[98:99], v[19:20]
	v_fma_f64 v[27:28], v[134:135], s[0:1], v[25:26]
	v_add_f64 v[17:18], v[17:18], v[19:20]
	v_add_f64 v[27:28], v[98:99], v[27:28]
	;; [unrolled: 1-line block ×3, first 2 shown]
	v_mul_f64 v[17:18], v[182:183], s[36:37]
	v_add_f64 v[9:10], v[9:10], v[13:14]
	v_fma_f64 v[13:14], v[197:198], s[16:17], v[33:34]
	v_fma_f64 v[19:20], v[152:153], s[10:11], v[17:18]
	v_mul_f64 v[33:34], v[209:210], s[26:27]
	v_add_f64 v[7:8], v[7:8], v[9:10]
	v_fma_f64 v[9:10], v[195:196], s[18:19], v[29:30]
	v_mul_f64 v[29:30], v[207:208], s[36:37]
	v_fma_f64 v[35:36], v[197:198], s[28:29], -v[33:34]
	v_add_f64 v[102:103], v[3:4], v[7:8]
	v_fma_f64 v[3:4], v[189:190], s[14:15], v[5:6]
	v_fma_f64 v[5:6], v[191:192], s[28:29], v[15:16]
	;; [unrolled: 1-line block ×5, first 2 shown]
	v_mul_f64 v[37:38], v[211:212], s[34:35]
	v_fma_f64 v[31:32], v[195:196], s[10:11], -v[29:30]
	v_add_f64 v[15:16], v[96:97], v[15:16]
	v_add_f64 v[23:24], v[23:24], v[27:28]
	v_fma_f64 v[104:105], v[199:200], s[0:1], -v[37:38]
	v_add_f64 v[13:14], v[13:14], v[15:16]
	v_add_f64 v[19:20], v[19:20], v[23:24]
	;; [unrolled: 1-line block ×3, first 2 shown]
	v_mul_f64 v[23:24], v[205:206], s[22:23]
	v_add_f64 v[9:10], v[9:10], v[13:14]
	v_mul_f64 v[13:14], v[174:175], s[22:23]
	v_add_f64 v[35:36], v[35:36], v[104:105]
	v_fma_f64 v[27:28], v[193:194], s[18:19], -v[23:24]
	v_add_f64 v[7:8], v[7:8], v[9:10]
	v_fma_f64 v[15:16], v[162:163], s[18:19], v[13:14]
	v_add_f64 v[31:32], v[31:32], v[35:36]
	v_add_f64 v[5:6], v[5:6], v[7:8]
	v_mul_f64 v[7:8], v[172:173], s[30:31]
	v_add_f64 v[15:16], v[15:16], v[19:20]
	v_add_f64 v[27:28], v[27:28], v[31:32]
	;; [unrolled: 1-line block ×3, first 2 shown]
	v_mul_f64 v[3:4], v[180:181], s[20:21]
	v_fma_f64 v[9:10], v[166:167], s[14:15], v[7:8]
	v_fma_f64 v[7:8], v[166:167], s[14:15], -v[7:8]
	v_fma_f64 v[5:6], v[170:171], s[16:17], v[3:4]
	v_add_f64 v[9:10], v[9:10], v[15:16]
	v_mul_f64 v[15:16], v[203:204], s[30:31]
	v_fma_f64 v[3:4], v[170:171], s[16:17], -v[3:4]
	v_add_f64 v[106:107], v[5:6], v[9:10]
	v_mul_f64 v[5:6], v[201:202], s[20:21]
	v_fma_f64 v[19:20], v[191:192], s[14:15], -v[15:16]
	v_fma_f64 v[9:10], v[189:190], s[16:17], -v[5:6]
	v_add_f64 v[19:20], v[19:20], v[27:28]
	v_add_f64 v[104:105], v[9:10], v[19:20]
	v_fma_f64 v[19:20], v[134:135], s[0:1], -v[25:26]
	v_fma_f64 v[9:10], v[162:163], s[18:19], -v[13:14]
	;; [unrolled: 1-line block ×4, first 2 shown]
	v_mul_f64 v[25:26], v[187:188], s[30:31]
	v_mul_f64 v[21:22], v[185:186], s[8:9]
	v_add_f64 v[19:20], v[98:99], v[19:20]
	v_fma_f64 v[27:28], v[134:135], s[14:15], v[25:26]
	v_add_f64 v[17:18], v[17:18], v[19:20]
	v_add_f64 v[27:28], v[98:99], v[27:28]
	;; [unrolled: 1-line block ×3, first 2 shown]
	v_mul_f64 v[17:18], v[182:183], s[26:27]
	v_add_f64 v[9:10], v[9:10], v[13:14]
	v_fma_f64 v[13:14], v[197:198], s[28:29], v[33:34]
	v_fma_f64 v[19:20], v[152:153], s[28:29], v[17:18]
	v_mul_f64 v[33:34], v[209:210], s[8:9]
	v_add_f64 v[7:8], v[7:8], v[9:10]
	v_fma_f64 v[9:10], v[195:196], s[10:11], v[29:30]
	v_mul_f64 v[29:30], v[207:208], s[26:27]
	v_fma_f64 v[35:36], v[197:198], s[10:11], -v[33:34]
	v_add_f64 v[110:111], v[3:4], v[7:8]
	v_fma_f64 v[3:4], v[189:190], s[16:17], v[5:6]
	v_fma_f64 v[5:6], v[191:192], s[14:15], v[15:16]
	;; [unrolled: 1-line block ×5, first 2 shown]
	v_mul_f64 v[37:38], v[211:212], s[30:31]
	v_fma_f64 v[31:32], v[195:196], s[28:29], -v[29:30]
	v_add_f64 v[15:16], v[96:97], v[15:16]
	v_add_f64 v[23:24], v[23:24], v[27:28]
	v_fma_f64 v[112:113], v[199:200], s[14:15], -v[37:38]
	v_add_f64 v[13:14], v[13:14], v[15:16]
	v_add_f64 v[19:20], v[19:20], v[23:24]
	;; [unrolled: 1-line block ×3, first 2 shown]
	v_mul_f64 v[23:24], v[205:206], s[38:39]
	v_add_f64 v[9:10], v[9:10], v[13:14]
	v_mul_f64 v[13:14], v[174:175], s[38:39]
	v_add_f64 v[35:36], v[35:36], v[112:113]
	v_fma_f64 v[27:28], v[193:194], s[16:17], -v[23:24]
	v_add_f64 v[7:8], v[7:8], v[9:10]
	v_fma_f64 v[15:16], v[162:163], s[16:17], v[13:14]
	v_add_f64 v[31:32], v[31:32], v[35:36]
	v_mul_f64 v[35:36], v[207:208], s[34:35]
	v_add_f64 v[5:6], v[5:6], v[7:8]
	v_mul_f64 v[7:8], v[172:173], s[24:25]
	v_add_f64 v[15:16], v[15:16], v[19:20]
	v_add_f64 v[27:28], v[27:28], v[31:32]
	;; [unrolled: 1-line block ×3, first 2 shown]
	v_mul_f64 v[3:4], v[180:181], s[22:23]
	v_fma_f64 v[9:10], v[166:167], s[0:1], v[7:8]
	v_fma_f64 v[5:6], v[170:171], s[18:19], v[3:4]
	v_add_f64 v[9:10], v[9:10], v[15:16]
	v_mul_f64 v[15:16], v[203:204], s[24:25]
	v_fma_f64 v[3:4], v[170:171], s[18:19], -v[3:4]
	v_add_f64 v[114:115], v[5:6], v[9:10]
	v_mul_f64 v[9:10], v[201:202], s[22:23]
	v_fma_f64 v[19:20], v[191:192], s[0:1], -v[15:16]
	s_mov_b32 s23, 0xbfddbe06
	v_fma_f64 v[5:6], v[189:190], s[18:19], -v[9:10]
	v_add_f64 v[19:20], v[19:20], v[27:28]
	v_add_f64 v[112:113], v[5:6], v[19:20]
	v_fma_f64 v[19:20], v[134:135], s[14:15], -v[25:26]
	v_fma_f64 v[5:6], v[166:167], s[0:1], -v[7:8]
	;; [unrolled: 1-line block ×5, first 2 shown]
	v_mul_f64 v[25:26], v[185:186], s[30:31]
	v_mul_f64 v[21:22], v[182:183], s[34:35]
	v_add_f64 v[19:20], v[98:99], v[19:20]
	v_fma_f64 v[27:28], v[154:155], s[14:15], v[25:26]
	v_fma_f64 v[25:26], v[154:155], s[14:15], -v[25:26]
	v_add_f64 v[17:18], v[17:18], v[19:20]
	v_add_f64 v[13:14], v[13:14], v[17:18]
	v_fma_f64 v[17:18], v[199:200], s[14:15], v[37:38]
	v_fma_f64 v[37:38], v[195:196], s[0:1], -v[35:36]
	v_add_f64 v[7:8], v[7:8], v[13:14]
	v_add_f64 v[17:18], v[96:97], v[17:18]
	v_fma_f64 v[13:14], v[195:196], s[28:29], v[29:30]
	v_mul_f64 v[29:30], v[187:188], s[22:23]
	v_add_f64 v[5:6], v[5:6], v[7:8]
	v_fma_f64 v[7:8], v[191:192], s[0:1], v[15:16]
	v_fma_f64 v[15:16], v[197:198], s[10:11], v[33:34]
	;; [unrolled: 1-line block ×3, first 2 shown]
	v_add_f64 v[5:6], v[3:4], v[5:6]
	v_fma_f64 v[3:4], v[189:190], s[18:19], v[9:10]
	v_add_f64 v[15:16], v[15:16], v[17:18]
	v_fma_f64 v[9:10], v[193:194], s[16:17], v[23:24]
	v_add_f64 v[31:32], v[98:99], v[31:32]
	v_mul_f64 v[17:18], v[174:175], s[8:9]
	v_fma_f64 v[23:24], v[152:153], s[0:1], v[21:22]
	v_fma_f64 v[21:22], v[152:153], s[0:1], -v[21:22]
	v_add_f64 v[13:14], v[13:14], v[15:16]
	v_mul_f64 v[15:16], v[172:173], s[20:21]
	v_mul_f64 v[172:173], v[209:210], s[30:31]
	v_add_f64 v[27:28], v[27:28], v[31:32]
	v_fma_f64 v[19:20], v[162:163], s[10:11], v[17:18]
	v_mul_f64 v[31:32], v[205:206], s[8:9]
	v_fma_f64 v[17:18], v[162:163], s[10:11], -v[17:18]
	v_add_f64 v[9:10], v[9:10], v[13:14]
	v_mul_f64 v[13:14], v[180:181], s[26:27]
	v_mul_f64 v[180:181], v[211:212], s[22:23]
	v_fma_f64 v[174:175], v[197:198], s[14:15], -v[172:173]
	v_add_f64 v[23:24], v[23:24], v[27:28]
	v_fma_f64 v[33:34], v[193:194], s[10:11], -v[31:32]
	v_add_f64 v[7:8], v[7:8], v[9:10]
	v_fma_f64 v[9:10], v[166:167], s[16:17], v[15:16]
	v_fma_f64 v[182:183], v[199:200], s[18:19], -v[180:181]
	v_fma_f64 v[15:16], v[166:167], s[16:17], -v[15:16]
	v_add_f64 v[19:20], v[19:20], v[23:24]
	v_mul_f64 v[23:24], v[203:204], s[20:21]
	v_add_f64 v[3:4], v[3:4], v[7:8]
	v_fma_f64 v[7:8], v[170:171], s[28:29], v[13:14]
	v_add_f64 v[182:183], v[96:97], v[182:183]
	v_fma_f64 v[13:14], v[170:171], s[28:29], -v[13:14]
	v_add_f64 v[9:10], v[9:10], v[19:20]
	v_mul_f64 v[19:20], v[201:202], s[26:27]
	v_fma_f64 v[27:28], v[191:192], s[16:17], -v[23:24]
	v_add_f64 v[174:175], v[174:175], v[182:183]
	v_add_f64 v[9:10], v[7:8], v[9:10]
	v_fma_f64 v[7:8], v[189:190], s[28:29], -v[19:20]
	v_add_f64 v[37:38], v[37:38], v[174:175]
	v_add_f64 v[33:34], v[33:34], v[37:38]
	;; [unrolled: 1-line block ×4, first 2 shown]
	v_fma_f64 v[27:28], v[134:135], s[18:19], -v[29:30]
	v_add_f64 v[27:28], v[98:99], v[27:28]
	v_add_f64 v[25:26], v[25:26], v[27:28]
	;; [unrolled: 1-line block ×3, first 2 shown]
	v_fma_f64 v[25:26], v[199:200], s[18:19], v[180:181]
	v_add_f64 v[17:18], v[17:18], v[21:22]
	v_add_f64 v[25:26], v[96:97], v[25:26]
	v_fma_f64 v[21:22], v[195:196], s[0:1], v[35:36]
	v_add_f64 v[15:16], v[15:16], v[17:18]
	v_fma_f64 v[17:18], v[191:192], s[16:17], v[23:24]
	v_fma_f64 v[23:24], v[197:198], s[14:15], v[172:173]
	v_add_f64 v[15:16], v[13:14], v[15:16]
	v_fma_f64 v[13:14], v[189:190], s[28:29], v[19:20]
	v_add_f64 v[23:24], v[23:24], v[25:26]
	;; [unrolled: 2-line block ×3, first 2 shown]
	v_add_f64 v[19:20], v[19:20], v[21:22]
	buffer_load_dword v21, off, s[52:55], 0 offset:168 ; 4-byte Folded Reload
	s_waitcnt vmcnt(1)
	v_mul_u32_u24_e32 v11, 0x4e, v11
	v_add_f64 v[17:18], v[17:18], v[19:20]
	v_add_f64 v[13:14], v[13:14], v[17:18]
	;; [unrolled: 1-line block ×11, first 2 shown]
	s_waitcnt vmcnt(0)
	v_add_u32_e32 v11, v11, v21
	buffer_load_dword v21, off, s[52:55], 0 offset:160 ; 4-byte Folded Reload
	v_add_f64 v[17:18], v[17:18], v[142:143]
	v_add_f64 v[17:18], v[17:18], v[136:137]
	;; [unrolled: 1-line block ×11, first 2 shown]
	s_waitcnt vmcnt(0)
	v_lshl_add_u32 v11, v11, 4, v21
	v_add_f64 v[17:18], v[17:18], v[120:121]
	v_add_f64 v[17:18], v[17:18], v[126:127]
	;; [unrolled: 1-line block ×4, first 2 shown]
	ds_write_b128 v11, v[17:20]
	ds_write_b128 v11, v[13:16] offset:96
	ds_write_b128 v11, v[3:6] offset:192
	;; [unrolled: 1-line block ×12, first 2 shown]
.LBB0_17:
	s_or_b64 exec, exec, s[2:3]
	s_waitcnt lgkmcnt(0)
	s_barrier
	ds_read_b128 v[3:6], v12
	ds_read_b128 v[7:10], v12 offset:1248
	ds_read_b128 v[13:16], v12 offset:2496
	;; [unrolled: 1-line block ×7, first 2 shown]
	s_waitcnt lgkmcnt(5)
	v_mul_f64 v[21:22], v[54:55], v[15:16]
	v_mul_f64 v[23:24], v[54:55], v[13:14]
	s_waitcnt lgkmcnt(3)
	v_mul_f64 v[25:26], v[50:51], v[80:81]
	v_mul_f64 v[27:28], v[50:51], v[78:79]
	s_waitcnt lgkmcnt(1)
	v_mul_f64 v[29:30], v[46:47], v[88:89]
	ds_read_b128 v[94:97], v12 offset:9984
	ds_read_b128 v[98:101], v12 offset:11232
	v_mul_f64 v[31:32], v[46:47], v[86:87]
	v_mul_f64 v[37:38], v[50:51], v[84:85]
	v_fma_f64 v[21:22], v[52:53], v[13:14], v[21:22]
	s_waitcnt lgkmcnt(1)
	v_mul_f64 v[13:14], v[42:43], v[96:97]
	v_mul_f64 v[33:34], v[42:43], v[94:95]
	v_fma_f64 v[23:24], v[52:53], v[15:16], -v[23:24]
	v_fma_f64 v[15:16], v[48:49], v[78:79], v[25:26]
	v_fma_f64 v[25:26], v[48:49], v[80:81], -v[27:28]
	v_fma_f64 v[27:28], v[44:45], v[86:87], v[29:30]
	v_fma_f64 v[29:30], v[44:45], v[88:89], -v[31:32]
	v_mul_f64 v[31:32], v[54:55], v[19:20]
	v_fma_f64 v[35:36], v[40:41], v[94:95], v[13:14]
	v_fma_f64 v[33:34], v[40:41], v[96:97], -v[33:34]
	v_mul_f64 v[13:14], v[54:55], v[17:18]
	v_mul_f64 v[50:51], v[50:51], v[82:83]
	v_add_f64 v[54:55], v[3:4], v[21:22]
	v_add_f64 v[78:79], v[15:16], v[27:28]
	v_fma_f64 v[37:38], v[48:49], v[82:83], v[37:38]
	v_fma_f64 v[31:32], v[52:53], v[17:18], v[31:32]
	v_mul_f64 v[17:18], v[46:47], v[92:93]
	v_mul_f64 v[46:47], v[46:47], v[90:91]
	v_fma_f64 v[52:53], v[52:53], v[19:20], -v[13:14]
	v_fma_f64 v[50:51], v[48:49], v[84:85], -v[50:51]
	v_add_f64 v[48:49], v[23:24], -v[33:34]
	v_fma_f64 v[19:20], v[78:79], -0.5, v[3:4]
	v_add_f64 v[84:85], v[21:22], v[35:36]
	v_mad_u64_u32 v[76:77], s[0:1], s6, v184, 0
	s_mov_b32 s0, 0x134454ff
	s_mov_b32 s1, 0xbfee6f0e
	v_add_f64 v[13:14], v[54:55], v[15:16]
	v_fma_f64 v[54:55], v[44:45], v[90:91], v[17:18]
	v_fma_f64 v[78:79], v[44:45], v[92:93], -v[46:47]
	s_waitcnt lgkmcnt(0)
	v_mul_f64 v[17:18], v[42:43], v[100:101]
	v_mul_f64 v[42:43], v[42:43], v[98:99]
	v_fma_f64 v[44:45], v[48:49], s[0:1], v[19:20]
	v_add_f64 v[46:47], v[25:26], -v[29:30]
	v_add_f64 v[80:81], v[21:22], -v[15:16]
	v_add_f64 v[82:83], v[35:36], -v[27:28]
	v_fma_f64 v[3:4], v[84:85], -0.5, v[3:4]
	s_mov_b32 s8, 0x4755a5e
	s_mov_b32 s15, 0x3fee6f0e
	;; [unrolled: 1-line block ×4, first 2 shown]
	v_fma_f64 v[19:20], v[48:49], s[14:15], v[19:20]
	v_add_f64 v[13:14], v[13:14], v[27:28]
	v_fma_f64 v[86:87], v[40:41], v[98:99], v[17:18]
	v_fma_f64 v[88:89], v[40:41], v[100:101], -v[42:43]
	v_fma_f64 v[17:18], v[46:47], s[8:9], v[44:45]
	v_add_f64 v[39:40], v[80:81], v[82:83]
	v_add_f64 v[41:42], v[5:6], v[23:24]
	;; [unrolled: 1-line block ×3, first 2 shown]
	v_fma_f64 v[80:81], v[46:47], s[14:15], v[3:4]
	v_add_f64 v[82:83], v[15:16], -v[21:22]
	v_add_f64 v[84:85], v[27:28], -v[35:36]
	s_mov_b32 s11, 0x3fe2cf23
	s_mov_b32 s10, s8
	v_fma_f64 v[19:20], v[46:47], s[10:11], v[19:20]
	v_fma_f64 v[45:46], v[46:47], s[0:1], v[3:4]
	v_add_f64 v[13:14], v[13:14], v[35:36]
	v_add_f64 v[41:42], v[41:42], v[25:26]
	v_fma_f64 v[90:91], v[43:44], -0.5, v[5:6]
	v_add_f64 v[21:22], v[21:22], -v[35:36]
	v_fma_f64 v[35:36], v[48:49], s[8:9], v[80:81]
	v_add_f64 v[43:44], v[82:83], v[84:85]
	s_mov_b32 s2, 0x372fe950
	s_mov_b32 s3, 0x3fd3c6ef
	v_fma_f64 v[3:4], v[39:40], s[2:3], v[17:18]
	v_fma_f64 v[17:18], v[39:40], s[2:3], v[19:20]
	;; [unrolled: 1-line block ×3, first 2 shown]
	v_add_f64 v[48:49], v[23:24], v[33:34]
	v_add_f64 v[46:47], v[41:42], v[29:30]
	v_fma_f64 v[80:81], v[21:22], s[14:15], v[90:91]
	v_add_f64 v[27:28], v[15:16], -v[27:28]
	v_fma_f64 v[40:41], v[43:44], s[2:3], v[35:36]
	v_add_f64 v[35:36], v[37:38], v[54:55]
	v_add_f64 v[82:83], v[23:24], -v[25:26]
	v_add_f64 v[84:85], v[33:34], -v[29:30]
	v_fma_f64 v[5:6], v[48:49], -0.5, v[5:6]
	v_fma_f64 v[44:45], v[43:44], s[2:3], v[19:20]
	v_add_f64 v[42:43], v[7:8], v[31:32]
	v_fma_f64 v[19:20], v[27:28], s[10:11], v[80:81]
	v_add_f64 v[80:81], v[52:53], -v[88:89]
	v_fma_f64 v[35:36], v[35:36], -0.5, v[7:8]
	v_add_f64 v[15:16], v[46:47], v[33:34]
	v_add_f64 v[46:47], v[82:83], v[84:85]
	v_fma_f64 v[48:49], v[21:22], s[0:1], v[90:91]
	v_fma_f64 v[82:83], v[27:28], s[0:1], v[5:6]
	v_add_f64 v[23:24], v[25:26], -v[23:24]
	v_add_f64 v[25:26], v[29:30], -v[33:34]
	v_fma_f64 v[5:6], v[27:28], s[14:15], v[5:6]
	v_add_f64 v[29:30], v[42:43], v[37:38]
	v_fma_f64 v[33:34], v[80:81], s[0:1], v[35:36]
	v_add_f64 v[84:85], v[50:51], -v[78:79]
	v_add_f64 v[42:43], v[31:32], -v[37:38]
	;; [unrolled: 1-line block ×3, first 2 shown]
	v_fma_f64 v[27:28], v[27:28], s[8:9], v[48:49]
	v_fma_f64 v[82:83], v[21:22], s[10:11], v[82:83]
	v_add_f64 v[23:24], v[23:24], v[25:26]
	v_fma_f64 v[21:22], v[21:22], s[8:9], v[5:6]
	v_add_f64 v[48:49], v[31:32], v[86:87]
	v_add_f64 v[25:26], v[29:30], v[54:55]
	v_fma_f64 v[29:30], v[84:85], s[8:9], v[33:34]
	v_add_f64 v[33:34], v[42:43], v[90:91]
	v_fma_f64 v[5:6], v[46:47], s[2:3], v[19:20]
	v_fma_f64 v[19:20], v[46:47], s[2:3], v[27:28]
	;; [unrolled: 1-line block ×4, first 2 shown]
	v_add_f64 v[21:22], v[50:51], v[78:79]
	v_fma_f64 v[90:91], v[48:49], -0.5, v[7:8]
	v_fma_f64 v[23:24], v[80:81], s[14:15], v[35:36]
	v_fma_f64 v[48:49], v[33:34], s[2:3], v[29:30]
	v_add_f64 v[29:30], v[52:53], v[88:89]
	v_add_f64 v[27:28], v[37:38], -v[31:32]
	v_add_f64 v[35:36], v[54:55], -v[86:87]
	v_add_f64 v[82:83], v[9:10], v[52:53]
	v_fma_f64 v[21:22], v[21:22], -0.5, v[9:10]
	v_add_f64 v[31:32], v[31:32], -v[86:87]
	v_add_f64 v[37:38], v[37:38], -v[54:55]
	v_add_f64 v[7:8], v[25:26], v[86:87]
	v_fma_f64 v[9:10], v[29:30], -0.5, v[9:10]
	v_fma_f64 v[25:26], v[84:85], s[14:15], v[90:91]
	v_add_f64 v[27:28], v[27:28], v[35:36]
	v_add_f64 v[35:36], v[82:83], v[50:51]
	v_fma_f64 v[23:24], v[84:85], s[10:11], v[23:24]
	v_fma_f64 v[29:30], v[84:85], s[0:1], v[90:91]
	v_fma_f64 v[54:55], v[31:32], s[14:15], v[21:22]
	v_add_f64 v[82:83], v[52:53], -v[50:51]
	v_add_f64 v[84:85], v[88:89], -v[78:79]
	v_fma_f64 v[21:22], v[31:32], s[0:1], v[21:22]
	v_fma_f64 v[86:87], v[37:38], s[0:1], v[9:10]
	v_add_f64 v[50:51], v[50:51], -v[52:53]
	v_add_f64 v[52:53], v[78:79], -v[88:89]
	v_fma_f64 v[9:10], v[37:38], s[14:15], v[9:10]
	v_add_f64 v[35:36], v[35:36], v[78:79]
	v_fma_f64 v[25:26], v[80:81], s[8:9], v[25:26]
	v_fma_f64 v[29:30], v[80:81], s[10:11], v[29:30]
	;; [unrolled: 1-line block ×3, first 2 shown]
	v_add_f64 v[80:81], v[82:83], v[84:85]
	v_fma_f64 v[21:22], v[37:38], s[8:9], v[21:22]
	v_fma_f64 v[37:38], v[31:32], s[10:11], v[86:87]
	v_add_f64 v[84:85], v[50:51], v[52:53]
	v_fma_f64 v[31:32], v[31:32], s[8:9], v[9:10]
	v_add_f64 v[9:10], v[35:36], v[88:89]
	v_fma_f64 v[78:79], v[27:28], s[2:3], v[25:26]
	v_fma_f64 v[52:53], v[33:34], s[2:3], v[23:24]
	;; [unrolled: 1-line block ×7, first 2 shown]
	s_barrier
	ds_write_b128 v12, v[13:16]
	ds_write_b128 v12, v[3:6] offset:1248
	ds_write_b128 v12, v[40:43] offset:2496
	;; [unrolled: 1-line block ×9, first 2 shown]
	s_waitcnt lgkmcnt(0)
	s_barrier
	ds_read_b128 v[3:6], v12 offset:6240
	ds_read_b128 v[7:10], v12
	ds_read_b128 v[13:16], v12 offset:1248
	ds_read_b128 v[17:20], v12 offset:7488
	;; [unrolled: 1-line block ×4, first 2 shown]
	s_waitcnt lgkmcnt(5)
	v_mul_f64 v[21:22], v[58:59], v[5:6]
	v_mul_f64 v[23:24], v[58:59], v[3:4]
	s_waitcnt lgkmcnt(2)
	v_mul_f64 v[25:26], v[62:63], v[19:20]
	v_mul_f64 v[27:28], v[62:63], v[17:18]
	ds_read_b128 v[48:51], v12 offset:2496
	ds_read_b128 v[52:55], v12 offset:3744
	;; [unrolled: 1-line block ×4, first 2 shown]
	s_mul_hi_u32 s6, s4, 0xffffec80
	s_sub_i32 s6, s6, s4
	v_fma_f64 v[3:4], v[56:57], v[3:4], v[21:22]
	v_fma_f64 v[5:6], v[56:57], v[5:6], -v[23:24]
	s_waitcnt lgkmcnt(5)
	v_mul_f64 v[21:22], v[66:67], v[42:43]
	v_mul_f64 v[23:24], v[66:67], v[40:41]
	v_fma_f64 v[17:18], v[60:61], v[17:18], v[25:26]
	v_fma_f64 v[19:20], v[60:61], v[19:20], -v[27:28]
	s_waitcnt lgkmcnt(1)
	v_mul_f64 v[25:26], v[70:71], v[80:81]
	v_mul_f64 v[27:28], v[70:71], v[78:79]
	s_waitcnt lgkmcnt(0)
	v_mul_f64 v[29:30], v[74:75], v[84:85]
	v_mul_f64 v[31:32], v[74:75], v[82:83]
	v_fma_f64 v[21:22], v[64:65], v[40:41], v[21:22]
	v_fma_f64 v[23:24], v[64:65], v[42:43], -v[23:24]
	v_add_f64 v[3:4], v[7:8], -v[3:4]
	v_add_f64 v[5:6], v[9:10], -v[5:6]
	v_fma_f64 v[25:26], v[68:69], v[78:79], v[25:26]
	v_fma_f64 v[27:28], v[68:69], v[80:81], -v[27:28]
	v_fma_f64 v[29:30], v[72:73], v[82:83], v[29:30]
	v_fma_f64 v[31:32], v[72:73], v[84:85], -v[31:32]
	v_add_f64 v[17:18], v[13:14], -v[17:18]
	v_add_f64 v[19:20], v[15:16], -v[19:20]
	;; [unrolled: 1-line block ×6, first 2 shown]
	v_fma_f64 v[7:8], v[7:8], 2.0, -v[3:4]
	v_fma_f64 v[9:10], v[9:10], 2.0, -v[5:6]
	v_add_f64 v[60:61], v[44:45], -v[29:30]
	v_add_f64 v[62:63], v[46:47], -v[31:32]
	v_fma_f64 v[13:14], v[13:14], 2.0, -v[17:18]
	v_fma_f64 v[15:16], v[15:16], 2.0, -v[19:20]
	;; [unrolled: 1-line block ×8, first 2 shown]
	ds_write_b128 v12, v[7:10]
	ds_write_b128 v12, v[3:6] offset:6240
	ds_write_b128 v12, v[13:16] offset:1248
	;; [unrolled: 1-line block ×9, first 2 shown]
	s_waitcnt lgkmcnt(0)
	s_barrier
	ds_read_b128 v[0:3], v12
	ds_read_b128 v[4:7], v12 offset:1248
	buffer_load_dword v19, off, s[52:55], 0 offset:144 ; 4-byte Folded Reload
	buffer_load_dword v20, off, s[52:55], 0 offset:148 ; 4-byte Folded Reload
	;; [unrolled: 1-line block ×4, first 2 shown]
	v_mov_b32_e32 v8, v77
	v_mad_u64_u32 v[17:18], s[0:1], s4, v255, 0
	v_mov_b32_e32 v25, s13
	s_waitcnt vmcnt(0) lgkmcnt(1)
	v_mul_f64 v[9:10], v[21:22], v[2:3]
	v_mad_u64_u32 v[13:14], s[0:1], s7, v184, v[8:9]
	v_mul_f64 v[14:15], v[21:22], v[0:1]
	v_fma_f64 v[8:9], v[19:20], v[0:1], v[9:10]
	v_mov_b32_e32 v0, v18
	v_mov_b32_e32 v77, v13
	s_mov_b32 s0, 0x15015015
	s_mov_b32 s1, 0x3f550150
	v_lshlrev_b64 v[21:22], 4, v[76:77]
	v_fma_f64 v[10:11], v[19:20], v[2:3], -v[14:15]
	v_mad_u64_u32 v[13:14], s[2:3], s5, v255, v[0:1]
	ds_read_b128 v[0:3], v12 offset:6240
	v_mul_f64 v[8:9], v[8:9], s[0:1]
	v_mov_b32_e32 v18, v13
	ds_read_b128 v[13:16], v12 offset:4992
	buffer_load_dword v26, off, s[52:55], 0 ; 4-byte Folded Reload
	buffer_load_dword v27, off, s[52:55], 0 offset:4 ; 4-byte Folded Reload
	buffer_load_dword v28, off, s[52:55], 0 offset:8 ; 4-byte Folded Reload
	;; [unrolled: 1-line block ×3, first 2 shown]
	v_mul_f64 v[10:11], v[10:11], s[0:1]
	v_add_co_u32_e32 v21, vcc, s12, v21
	v_lshlrev_b64 v[17:18], 4, v[17:18]
	v_addc_co_u32_e32 v22, vcc, v25, v22, vcc
	v_add_co_u32_e32 v17, vcc, v21, v17
	v_addc_co_u32_e32 v18, vcc, v22, v18, vcc
	global_store_dwordx4 v[17:18], v[8:11], off
	s_mul_i32 s2, s5, 0x1860
	s_mul_hi_u32 s3, s4, 0x1860
	s_add_i32 s2, s3, s2
	s_mul_i32 s3, s4, 0x1860
	s_mulk_i32 s5, 0xec80
	s_add_i32 s5, s6, s5
	s_mulk_i32 s4, 0xec80
	v_mov_b32_e32 v31, s5
	s_waitcnt vmcnt(1) lgkmcnt(1)
	v_mul_f64 v[19:20], v[28:29], v[2:3]
	v_mul_f64 v[23:24], v[28:29], v[0:1]
	v_fma_f64 v[0:1], v[26:27], v[0:1], v[19:20]
	v_fma_f64 v[2:3], v[26:27], v[2:3], -v[23:24]
	buffer_load_dword v20, off, s[52:55], 0 offset:16 ; 4-byte Folded Reload
	buffer_load_dword v21, off, s[52:55], 0 offset:20 ; 4-byte Folded Reload
	;; [unrolled: 1-line block ×4, first 2 shown]
	v_mov_b32_e32 v19, s2
	v_mul_f64 v[0:1], v[0:1], s[0:1]
	v_mul_f64 v[2:3], v[2:3], s[0:1]
	s_waitcnt vmcnt(0)
	v_mul_f64 v[8:9], v[22:23], v[6:7]
	v_mul_f64 v[10:11], v[22:23], v[4:5]
	v_fma_f64 v[4:5], v[20:21], v[4:5], v[8:9]
	v_fma_f64 v[6:7], v[20:21], v[6:7], -v[10:11]
	v_add_co_u32_e32 v21, vcc, s3, v17
	v_addc_co_u32_e32 v22, vcc, v18, v19, vcc
	global_store_dwordx4 v[21:22], v[0:3], off
	ds_read_b128 v[0:3], v12 offset:7488
	ds_read_b128 v[8:11], v12 offset:8736
	buffer_load_dword v27, off, s[52:55], 0 offset:32 ; 4-byte Folded Reload
	buffer_load_dword v28, off, s[52:55], 0 offset:36 ; 4-byte Folded Reload
	;; [unrolled: 1-line block ×4, first 2 shown]
	ds_read_b128 v[17:20], v12 offset:2496
	v_mul_f64 v[4:5], v[4:5], s[0:1]
	v_mul_f64 v[6:7], v[6:7], s[0:1]
	v_add_co_u32_e32 v21, vcc, s4, v21
	v_addc_co_u32_e32 v22, vcc, v22, v31, vcc
	v_mov_b32_e32 v31, s2
	s_waitcnt vmcnt(0) lgkmcnt(2)
	v_mul_f64 v[23:24], v[29:30], v[2:3]
	v_mul_f64 v[25:26], v[29:30], v[0:1]
	v_fma_f64 v[23:24], v[27:28], v[0:1], v[23:24]
	v_fma_f64 v[25:26], v[27:28], v[2:3], -v[25:26]
	ds_read_b128 v[0:3], v12 offset:3744
	buffer_load_dword v32, off, s[52:55], 0 offset:112 ; 4-byte Folded Reload
	buffer_load_dword v33, off, s[52:55], 0 offset:116 ; 4-byte Folded Reload
	;; [unrolled: 1-line block ×4, first 2 shown]
	s_waitcnt vmcnt(0) lgkmcnt(1)
	v_mul_f64 v[27:28], v[34:35], v[19:20]
	v_mul_f64 v[29:30], v[34:35], v[17:18]
	global_store_dwordx4 v[21:22], v[4:7], off
	v_add_co_u32_e32 v21, vcc, s3, v21
	v_mul_f64 v[4:5], v[23:24], s[0:1]
	v_mul_f64 v[6:7], v[25:26], s[0:1]
	v_addc_co_u32_e32 v22, vcc, v22, v31, vcc
	v_fma_f64 v[17:18], v[32:33], v[17:18], v[27:28]
	v_fma_f64 v[19:20], v[32:33], v[19:20], -v[29:30]
	buffer_load_dword v32, off, s[52:55], 0 offset:48 ; 4-byte Folded Reload
	buffer_load_dword v33, off, s[52:55], 0 offset:52 ; 4-byte Folded Reload
	buffer_load_dword v34, off, s[52:55], 0 offset:56 ; 4-byte Folded Reload
	buffer_load_dword v35, off, s[52:55], 0 offset:60 ; 4-byte Folded Reload
	v_mov_b32_e32 v27, s5
	global_store_dwordx4 v[21:22], v[4:7], off
	v_add_co_u32_e32 v21, vcc, s4, v21
	v_mul_f64 v[4:5], v[17:18], s[0:1]
	v_mul_f64 v[6:7], v[19:20], s[0:1]
	v_addc_co_u32_e32 v22, vcc, v22, v27, vcc
	v_mov_b32_e32 v27, s2
	s_waitcnt vmcnt(1)
	v_mul_f64 v[23:24], v[34:35], v[10:11]
	v_mul_f64 v[25:26], v[34:35], v[8:9]
	v_fma_f64 v[8:9], v[32:33], v[8:9], v[23:24]
	v_fma_f64 v[10:11], v[32:33], v[10:11], -v[25:26]
	buffer_load_dword v23, off, s[52:55], 0 offset:80 ; 4-byte Folded Reload
	buffer_load_dword v24, off, s[52:55], 0 offset:84 ; 4-byte Folded Reload
	;; [unrolled: 1-line block ×4, first 2 shown]
	s_waitcnt vmcnt(0) lgkmcnt(0)
	v_mul_f64 v[17:18], v[25:26], v[2:3]
	v_mul_f64 v[19:20], v[25:26], v[0:1]
	global_store_dwordx4 v[21:22], v[4:7], off
	v_add_co_u32_e32 v21, vcc, s3, v21
	v_mul_f64 v[4:5], v[8:9], s[0:1]
	v_mul_f64 v[6:7], v[10:11], s[0:1]
	ds_read_b128 v[8:11], v12 offset:9984
	v_fma_f64 v[17:18], v[23:24], v[0:1], v[17:18]
	v_fma_f64 v[19:20], v[23:24], v[2:3], -v[19:20]
	ds_read_b128 v[0:3], v12 offset:11232
	buffer_load_dword v28, off, s[52:55], 0 offset:64 ; 4-byte Folded Reload
	buffer_load_dword v29, off, s[52:55], 0 offset:68 ; 4-byte Folded Reload
	;; [unrolled: 1-line block ×4, first 2 shown]
	v_addc_co_u32_e32 v22, vcc, v22, v27, vcc
	global_store_dwordx4 v[21:22], v[4:7], off
	v_mov_b32_e32 v12, s5
	v_mul_f64 v[4:5], v[17:18], s[0:1]
	v_add_co_u32_e32 v17, vcc, s4, v21
	v_mul_f64 v[6:7], v[19:20], s[0:1]
	v_addc_co_u32_e32 v18, vcc, v22, v12, vcc
	s_waitcnt vmcnt(1) lgkmcnt(1)
	v_mul_f64 v[23:24], v[30:31], v[10:11]
	v_mul_f64 v[25:26], v[30:31], v[8:9]
	v_fma_f64 v[8:9], v[28:29], v[8:9], v[23:24]
	v_fma_f64 v[10:11], v[28:29], v[10:11], -v[25:26]
	buffer_load_dword v28, off, s[52:55], 0 offset:96 ; 4-byte Folded Reload
	buffer_load_dword v29, off, s[52:55], 0 offset:100 ; 4-byte Folded Reload
	buffer_load_dword v30, off, s[52:55], 0 offset:104 ; 4-byte Folded Reload
	buffer_load_dword v31, off, s[52:55], 0 offset:108 ; 4-byte Folded Reload
	s_waitcnt vmcnt(0)
	v_mul_f64 v[19:20], v[30:31], v[15:16]
	v_mul_f64 v[21:22], v[30:31], v[13:14]
	buffer_load_dword v30, off, s[52:55], 0 offset:128 ; 4-byte Folded Reload
	buffer_load_dword v31, off, s[52:55], 0 offset:132 ; 4-byte Folded Reload
	;; [unrolled: 1-line block ×4, first 2 shown]
	s_waitcnt vmcnt(0) lgkmcnt(0)
	v_mul_f64 v[23:24], v[32:33], v[2:3]
	v_mul_f64 v[25:26], v[32:33], v[0:1]
	global_store_dwordx4 v[17:18], v[4:7], off
	s_nop 0
	v_mul_f64 v[4:5], v[8:9], s[0:1]
	v_mul_f64 v[6:7], v[10:11], s[0:1]
	v_fma_f64 v[8:9], v[28:29], v[13:14], v[19:20]
	v_fma_f64 v[10:11], v[28:29], v[15:16], -v[21:22]
	v_fma_f64 v[12:13], v[30:31], v[0:1], v[23:24]
	v_fma_f64 v[14:15], v[30:31], v[2:3], -v[25:26]
	v_add_co_u32_e32 v16, vcc, s3, v17
	v_addc_co_u32_e32 v17, vcc, v18, v27, vcc
	v_mul_f64 v[0:1], v[8:9], s[0:1]
	v_mul_f64 v[2:3], v[10:11], s[0:1]
	global_store_dwordx4 v[16:17], v[4:7], off
	v_mov_b32_e32 v9, s5
	v_mul_f64 v[4:5], v[12:13], s[0:1]
	v_mul_f64 v[6:7], v[14:15], s[0:1]
	v_add_co_u32_e32 v8, vcc, s4, v16
	v_addc_co_u32_e32 v9, vcc, v17, v9, vcc
	global_store_dwordx4 v[8:9], v[0:3], off
	s_nop 0
	v_mov_b32_e32 v1, s2
	v_add_co_u32_e32 v0, vcc, s3, v8
	v_addc_co_u32_e32 v1, vcc, v9, v1, vcc
	global_store_dwordx4 v[0:1], v[4:7], off
.LBB0_18:
	s_endpgm
	.section	.rodata,"a",@progbits
	.p2align	6, 0x0
	.amdhsa_kernel bluestein_single_fwd_len780_dim1_dp_op_CI_CI
		.amdhsa_group_segment_fixed_size 37440
		.amdhsa_private_segment_fixed_size 408
		.amdhsa_kernarg_size 104
		.amdhsa_user_sgpr_count 6
		.amdhsa_user_sgpr_private_segment_buffer 1
		.amdhsa_user_sgpr_dispatch_ptr 0
		.amdhsa_user_sgpr_queue_ptr 0
		.amdhsa_user_sgpr_kernarg_segment_ptr 1
		.amdhsa_user_sgpr_dispatch_id 0
		.amdhsa_user_sgpr_flat_scratch_init 0
		.amdhsa_user_sgpr_private_segment_size 0
		.amdhsa_uses_dynamic_stack 0
		.amdhsa_system_sgpr_private_segment_wavefront_offset 1
		.amdhsa_system_sgpr_workgroup_id_x 1
		.amdhsa_system_sgpr_workgroup_id_y 0
		.amdhsa_system_sgpr_workgroup_id_z 0
		.amdhsa_system_sgpr_workgroup_info 0
		.amdhsa_system_vgpr_workitem_id 0
		.amdhsa_next_free_vgpr 256
		.amdhsa_next_free_sgpr 56
		.amdhsa_reserve_vcc 1
		.amdhsa_reserve_flat_scratch 0
		.amdhsa_float_round_mode_32 0
		.amdhsa_float_round_mode_16_64 0
		.amdhsa_float_denorm_mode_32 3
		.amdhsa_float_denorm_mode_16_64 3
		.amdhsa_dx10_clamp 1
		.amdhsa_ieee_mode 1
		.amdhsa_fp16_overflow 0
		.amdhsa_exception_fp_ieee_invalid_op 0
		.amdhsa_exception_fp_denorm_src 0
		.amdhsa_exception_fp_ieee_div_zero 0
		.amdhsa_exception_fp_ieee_overflow 0
		.amdhsa_exception_fp_ieee_underflow 0
		.amdhsa_exception_fp_ieee_inexact 0
		.amdhsa_exception_int_div_zero 0
	.end_amdhsa_kernel
	.text
.Lfunc_end0:
	.size	bluestein_single_fwd_len780_dim1_dp_op_CI_CI, .Lfunc_end0-bluestein_single_fwd_len780_dim1_dp_op_CI_CI
                                        ; -- End function
	.section	.AMDGPU.csdata,"",@progbits
; Kernel info:
; codeLenInByte = 20384
; NumSgprs: 60
; NumVgprs: 256
; ScratchSize: 408
; MemoryBound: 0
; FloatMode: 240
; IeeeMode: 1
; LDSByteSize: 37440 bytes/workgroup (compile time only)
; SGPRBlocks: 7
; VGPRBlocks: 63
; NumSGPRsForWavesPerEU: 60
; NumVGPRsForWavesPerEU: 256
; Occupancy: 1
; WaveLimiterHint : 1
; COMPUTE_PGM_RSRC2:SCRATCH_EN: 1
; COMPUTE_PGM_RSRC2:USER_SGPR: 6
; COMPUTE_PGM_RSRC2:TRAP_HANDLER: 0
; COMPUTE_PGM_RSRC2:TGID_X_EN: 1
; COMPUTE_PGM_RSRC2:TGID_Y_EN: 0
; COMPUTE_PGM_RSRC2:TGID_Z_EN: 0
; COMPUTE_PGM_RSRC2:TIDIG_COMP_CNT: 0
	.type	__hip_cuid_349f062746439aa,@object ; @__hip_cuid_349f062746439aa
	.section	.bss,"aw",@nobits
	.globl	__hip_cuid_349f062746439aa
__hip_cuid_349f062746439aa:
	.byte	0                               ; 0x0
	.size	__hip_cuid_349f062746439aa, 1

	.ident	"AMD clang version 19.0.0git (https://github.com/RadeonOpenCompute/llvm-project roc-6.4.0 25133 c7fe45cf4b819c5991fe208aaa96edf142730f1d)"
	.section	".note.GNU-stack","",@progbits
	.addrsig
	.addrsig_sym __hip_cuid_349f062746439aa
	.amdgpu_metadata
---
amdhsa.kernels:
  - .args:
      - .actual_access:  read_only
        .address_space:  global
        .offset:         0
        .size:           8
        .value_kind:     global_buffer
      - .actual_access:  read_only
        .address_space:  global
        .offset:         8
        .size:           8
        .value_kind:     global_buffer
      - .actual_access:  read_only
        .address_space:  global
        .offset:         16
        .size:           8
        .value_kind:     global_buffer
      - .actual_access:  read_only
        .address_space:  global
        .offset:         24
        .size:           8
        .value_kind:     global_buffer
      - .actual_access:  read_only
        .address_space:  global
        .offset:         32
        .size:           8
        .value_kind:     global_buffer
      - .offset:         40
        .size:           8
        .value_kind:     by_value
      - .address_space:  global
        .offset:         48
        .size:           8
        .value_kind:     global_buffer
      - .address_space:  global
        .offset:         56
        .size:           8
        .value_kind:     global_buffer
      - .address_space:  global
        .offset:         64
        .size:           8
        .value_kind:     global_buffer
      - .address_space:  global
        .offset:         72
        .size:           8
        .value_kind:     global_buffer
      - .offset:         80
        .size:           4
        .value_kind:     by_value
      - .address_space:  global
        .offset:         88
        .size:           8
        .value_kind:     global_buffer
      - .address_space:  global
        .offset:         96
        .size:           8
        .value_kind:     global_buffer
    .group_segment_fixed_size: 37440
    .kernarg_segment_align: 8
    .kernarg_segment_size: 104
    .language:       OpenCL C
    .language_version:
      - 2
      - 0
    .max_flat_workgroup_size: 234
    .name:           bluestein_single_fwd_len780_dim1_dp_op_CI_CI
    .private_segment_fixed_size: 408
    .sgpr_count:     60
    .sgpr_spill_count: 0
    .symbol:         bluestein_single_fwd_len780_dim1_dp_op_CI_CI.kd
    .uniform_work_group_size: 1
    .uses_dynamic_stack: false
    .vgpr_count:     256
    .vgpr_spill_count: 101
    .wavefront_size: 64
amdhsa.target:   amdgcn-amd-amdhsa--gfx906
amdhsa.version:
  - 1
  - 2
...

	.end_amdgpu_metadata
